;; amdgpu-corpus repo=ROCm/rocFFT kind=compiled arch=gfx906 opt=O3
	.text
	.amdgcn_target "amdgcn-amd-amdhsa--gfx906"
	.amdhsa_code_object_version 6
	.protected	bluestein_single_fwd_len792_dim1_sp_op_CI_CI ; -- Begin function bluestein_single_fwd_len792_dim1_sp_op_CI_CI
	.globl	bluestein_single_fwd_len792_dim1_sp_op_CI_CI
	.p2align	8
	.type	bluestein_single_fwd_len792_dim1_sp_op_CI_CI,@function
bluestein_single_fwd_len792_dim1_sp_op_CI_CI: ; @bluestein_single_fwd_len792_dim1_sp_op_CI_CI
; %bb.0:
	s_load_dwordx4 s[12:15], s[4:5], 0x28
	v_mul_u32_u24_e32 v1, 0x2e9, v0
	v_lshrrev_b32_e32 v2, 16, v1
	v_lshl_add_u32 v66, s6, 1, v2
	v_mov_b32_e32 v67, 0
	s_waitcnt lgkmcnt(0)
	v_cmp_gt_u64_e32 vcc, s[12:13], v[66:67]
	s_and_saveexec_b64 s[0:1], vcc
	s_cbranch_execz .LBB0_39
; %bb.1:
	s_load_dwordx4 s[8:11], s[4:5], 0x18
	s_load_dwordx2 s[12:13], s[4:5], 0x0
	v_mul_lo_u16_e32 v1, 0x58, v2
	v_sub_u16_e32 v84, v0, v1
	v_lshlrev_b32_e32 v21, 3, v84
	s_waitcnt lgkmcnt(0)
	s_load_dwordx4 s[0:3], s[8:9], 0x0
	s_waitcnt lgkmcnt(0)
	v_mad_u64_u32 v[0:1], s[6:7], s2, v66, 0
	v_mad_u64_u32 v[3:4], s[6:7], s0, v84, 0
	;; [unrolled: 1-line block ×3, first 2 shown]
	s_mul_i32 s6, s1, 0x18c
	s_mul_hi_u32 s7, s0, 0x18c
	v_mad_u64_u32 v[6:7], s[2:3], s1, v84, v[4:5]
	v_mov_b32_e32 v1, v5
	v_lshlrev_b64 v[0:1], 3, v[0:1]
	v_mov_b32_e32 v7, s15
	v_mov_b32_e32 v4, v6
	v_add_co_u32_e32 v5, vcc, s14, v0
	v_addc_co_u32_e32 v6, vcc, v7, v1, vcc
	v_lshlrev_b64 v[0:1], 3, v[3:4]
	s_add_i32 s7, s7, s6
	s_mul_i32 s6, s0, 0x18c
	v_add_co_u32_e32 v0, vcc, v5, v0
	v_mov_b32_e32 v5, s13
	v_add_co_u32_e64 v58, s[2:3], s12, v21
	s_lshl_b64 s[14:15], s[6:7], 3
	s_mul_hi_u32 s6, s0, 0xfffffecc
	v_addc_co_u32_e32 v1, vcc, v6, v1, vcc
	v_addc_co_u32_e64 v59, vcc, 0, v5, s[2:3]
	s_mulk_i32 s1, 0xfecc
	s_sub_i32 s6, s6, s0
	global_load_dwordx2 v[3:4], v[0:1], off
	v_mov_b32_e32 v19, s15
	v_add_co_u32_e32 v0, vcc, s14, v0
	s_add_i32 s1, s6, s1
	s_mulk_i32 s0, 0xfecc
	v_addc_co_u32_e32 v1, vcc, v1, v19, vcc
	s_lshl_b64 s[16:17], s[0:1], 3
	global_load_dwordx2 v[5:6], v[0:1], off
	v_mov_b32_e32 v17, s17
	v_add_co_u32_e32 v0, vcc, s16, v0
	v_addc_co_u32_e32 v1, vcc, v1, v17, vcc
	v_add_co_u32_e32 v7, vcc, s14, v0
	v_addc_co_u32_e32 v8, vcc, v1, v19, vcc
	v_add_co_u32_e32 v9, vcc, s16, v7
	global_load_dwordx2 v[75:76], v21, s[12:13]
	global_load_dwordx2 v[71:72], v21, s[12:13] offset:704
	v_addc_co_u32_e32 v10, vcc, v8, v17, vcc
	global_load_dwordx2 v[73:74], v21, s[12:13] offset:3168
	global_load_dwordx2 v[69:70], v21, s[12:13] offset:3872
	global_load_dwordx2 v[11:12], v[0:1], off
	global_load_dwordx2 v[13:14], v[7:8], off
	;; [unrolled: 1-line block ×3, first 2 shown]
	global_load_dwordx2 v[67:68], v21, s[12:13] offset:1408
	v_add_co_u32_e32 v0, vcc, s14, v9
	v_addc_co_u32_e32 v1, vcc, v10, v19, vcc
	s_movk_i32 s0, 0x1000
	v_add_co_u32_e32 v9, vcc, s0, v58
	v_addc_co_u32_e32 v10, vcc, 0, v59, vcc
	global_load_dwordx2 v[7:8], v[0:1], off
	global_load_dwordx2 v[64:65], v[9:10], off offset:480
	v_add_co_u32_e32 v0, vcc, s16, v0
	v_addc_co_u32_e32 v1, vcc, v1, v17, vcc
	global_load_dwordx2 v[17:18], v[0:1], off
	global_load_dwordx2 v[62:63], v21, s[12:13] offset:2112
	v_add_co_u32_e32 v0, vcc, s14, v0
	v_addc_co_u32_e32 v1, vcc, v1, v19, vcc
	global_load_dwordx2 v[60:61], v[9:10], off offset:1184
	global_load_dwordx2 v[19:20], v[0:1], off
	v_and_b32_e32 v2, 1, v2
	v_mov_b32_e32 v9, 0x318
	v_cmp_eq_u32_e32 vcc, 1, v2
	v_cndmask_b32_e32 v2, 0, v9, vcc
	v_lshlrev_b32_e32 v85, 3, v2
	v_add_u32_e32 v83, v85, v21
	s_load_dwordx2 s[6:7], s[4:5], 0x38
	v_cmp_gt_u16_e64 s[0:1], 44, v84
	s_load_dwordx4 s[8:11], s[10:11], 0x0
	s_waitcnt vmcnt(13)
	v_mul_f32_e32 v2, v4, v76
	v_fmac_f32_e32 v2, v3, v75
	v_mul_f32_e32 v3, v3, v76
	v_fma_f32 v3, v4, v75, -v3
	s_waitcnt vmcnt(11)
	v_mul_f32_e32 v4, v6, v74
	v_fmac_f32_e32 v4, v5, v73
	v_mul_f32_e32 v5, v5, v74
	v_fma_f32 v5, v6, v73, -v5
	ds_write_b64 v83, v[4:5] offset:3168
	s_waitcnt vmcnt(9)
	v_mul_f32_e32 v4, v12, v72
	v_mul_f32_e32 v5, v11, v72
	v_fmac_f32_e32 v4, v11, v71
	v_fma_f32 v5, v12, v71, -v5
	ds_write2_b64 v83, v[2:3], v[4:5] offset1:88
	s_waitcnt vmcnt(8)
	v_mul_f32_e32 v2, v14, v70
	v_mul_f32_e32 v3, v13, v70
	s_waitcnt vmcnt(4)
	v_mul_f32_e32 v6, v8, v65
	v_fmac_f32_e32 v6, v7, v64
	v_mul_f32_e32 v7, v7, v65
	v_fmac_f32_e32 v2, v13, v69
	v_fma_f32 v3, v14, v69, -v3
	v_fma_f32 v7, v8, v64, -v7
	v_add_u32_e32 v8, 0xc00, v83
	v_mul_f32_e32 v4, v16, v68
	v_mul_f32_e32 v5, v15, v68
	ds_write2_b64 v8, v[2:3], v[6:7] offset0:100 offset1:188
	s_waitcnt vmcnt(2)
	v_mul_f32_e32 v6, v18, v63
	v_mul_f32_e32 v2, v17, v63
	v_fmac_f32_e32 v4, v15, v67
	v_fma_f32 v5, v16, v67, -v5
	v_fmac_f32_e32 v6, v17, v62
	v_fma_f32 v7, v18, v62, -v2
	v_add_u32_e32 v2, 0x400, v83
	ds_write2_b64 v2, v[4:5], v[6:7] offset0:48 offset1:136
	s_waitcnt vmcnt(0)
	v_mul_f32_e32 v3, v20, v61
	v_mul_f32_e32 v4, v19, v61
	v_fmac_f32_e32 v3, v19, v60
	v_fma_f32 v4, v20, v60, -v4
	ds_write_b64 v83, v[3:4] offset:5280
	s_and_saveexec_b64 s[18:19], s[0:1]
	s_cbranch_execz .LBB0_3
; %bb.2:
	v_mov_b32_e32 v3, s17
	v_add_co_u32_e32 v0, vcc, s16, v0
	v_addc_co_u32_e32 v1, vcc, v1, v3, vcc
	global_load_dwordx2 v[3:4], v[0:1], off
	global_load_dwordx2 v[5:6], v[58:59], off offset:2816
	v_mov_b32_e32 v7, s15
	v_add_co_u32_e32 v0, vcc, s14, v0
	v_addc_co_u32_e32 v1, vcc, v1, v7, vcc
	v_add_co_u32_e32 v7, vcc, 0x1000, v58
	v_addc_co_u32_e32 v8, vcc, 0, v59, vcc
	global_load_dwordx2 v[9:10], v[7:8], off offset:1888
	global_load_dwordx2 v[11:12], v[0:1], off
	s_waitcnt vmcnt(2)
	v_mul_f32_e32 v0, v4, v6
	v_mul_f32_e32 v1, v3, v6
	v_fmac_f32_e32 v0, v3, v5
	v_fma_f32 v1, v4, v5, -v1
	ds_write_b64 v83, v[0:1] offset:2816
	s_waitcnt vmcnt(0)
	v_mul_f32_e32 v3, v12, v10
	v_mul_f32_e32 v4, v11, v10
	v_fmac_f32_e32 v3, v11, v9
	v_fma_f32 v4, v12, v9, -v4
	ds_write_b64 v83, v[3:4] offset:5984
.LBB0_3:
	s_or_b64 exec, exec, s[18:19]
	v_add_u32_e32 v0, 0x800, v83
	v_add_u32_e32 v8, 0x1000, v83
	s_waitcnt lgkmcnt(0)
	s_barrier
	ds_read2_b64 v[4:7], v83 offset1:88
	ds_read2_b64 v[12:15], v0 offset0:140 offset1:228
	ds_read2_b64 v[0:3], v2 offset0:48 offset1:136
	;; [unrolled: 1-line block ×3, first 2 shown]
                                        ; implicit-def: $vgpr18
                                        ; implicit-def: $vgpr16
	s_and_saveexec_b64 s[14:15], s[0:1]
	s_cbranch_execz .LBB0_5
; %bb.4:
	ds_read_b64 v[16:17], v83 offset:2816
	ds_read_b64 v[18:19], v83 offset:5984
.LBB0_5:
	s_or_b64 exec, exec, s[14:15]
	s_load_dwordx2 s[14:15], s[4:5], 0x8
	v_lshlrev_b32_e32 v22, 1, v84
	s_waitcnt lgkmcnt(0)
	v_sub_f32_e32 v14, v6, v14
	v_sub_f32_e32 v15, v7, v15
	;; [unrolled: 1-line block ×4, first 2 shown]
	v_add_co_u32_e32 v21, vcc, 0x58, v84
	v_add_co_u32_e32 v20, vcc, 0xb0, v84
	;; [unrolled: 1-line block ×3, first 2 shown]
	v_sub_f32_e32 v29, v4, v12
	v_sub_f32_e32 v30, v5, v13
	v_fma_f32 v12, v6, 2.0, -v14
	v_fma_f32 v13, v7, 2.0, -v15
	v_sub_f32_e32 v6, v0, v8
	v_sub_f32_e32 v7, v1, v9
	v_fma_f32 v8, v2, 2.0, -v10
	v_fma_f32 v9, v3, 2.0, -v11
	v_sub_f32_e32 v2, v16, v18
	v_sub_f32_e32 v3, v17, v19
	v_add_u32_e32 v25, 0x210, v22
	v_fma_f32 v27, v4, 2.0, -v29
	v_fma_f32 v28, v5, 2.0, -v30
	;; [unrolled: 1-line block ×6, first 2 shown]
	v_lshl_add_u32 v88, v84, 4, v85
	v_lshlrev_b32_e32 v23, 1, v21
	v_lshl_add_u32 v90, v21, 4, v85
	v_lshlrev_b32_e32 v24, 1, v20
	v_lshl_add_u32 v91, v20, 4, v85
	v_lshl_add_u32 v92, v25, 3, v85
	;; [unrolled: 1-line block ×3, first 2 shown]
	s_barrier
	ds_write_b128 v88, v[27:30]
	ds_write_b128 v90, v[12:15]
	;; [unrolled: 1-line block ×4, first 2 shown]
	s_and_saveexec_b64 s[4:5], s[0:1]
	s_cbranch_execz .LBB0_7
; %bb.6:
	ds_write_b128 v89, v[0:3]
.LBB0_7:
	s_or_b64 exec, exec, s[4:5]
	v_add_u32_e32 v8, 0x800, v83
	s_waitcnt lgkmcnt(0)
	s_barrier
	ds_read2_b64 v[12:15], v8 offset0:140 offset1:228
	v_add_u32_e32 v8, 0x400, v83
	v_add_u32_e32 v16, 0x1000, v83
	ds_read2_b64 v[4:7], v83 offset1:88
	ds_read2_b64 v[8:11], v8 offset0:48 offset1:136
	ds_read2_b64 v[16:19], v16 offset0:60 offset1:148
	s_and_saveexec_b64 s[4:5], s[0:1]
	s_cbranch_execz .LBB0_9
; %bb.8:
	ds_read_b64 v[0:1], v83 offset:2816
	ds_read_b64 v[2:3], v83 offset:5984
.LBB0_9:
	s_or_b64 exec, exec, s[4:5]
	v_and_b32_e32 v86, 1, v84
	v_lshlrev_b32_e32 v27, 3, v86
	global_load_dwordx2 v[77:78], v27, s[14:15]
	s_movk_i32 s4, 0xfc
	s_movk_i32 s12, 0x3fc
	v_lshlrev_b32_e32 v87, 1, v26
	s_waitcnt vmcnt(0) lgkmcnt(0)
	s_barrier
	v_mul_f32_e32 v27, v13, v78
	v_fma_f32 v27, v12, v77, -v27
	v_mul_f32_e32 v12, v12, v78
	v_fmac_f32_e32 v12, v13, v77
	v_mul_f32_e32 v13, v15, v78
	v_fma_f32 v13, v14, v77, -v13
	v_mul_f32_e32 v14, v14, v78
	v_fmac_f32_e32 v14, v15, v77
	;; [unrolled: 4-line block ×4, first 2 shown]
	v_mul_f32_e32 v19, v3, v78
	v_fma_f32 v19, v2, v77, -v19
	v_mul_f32_e32 v29, v2, v78
	v_sub_f32_e32 v28, v11, v18
	v_sub_f32_e32 v18, v0, v19
	v_fmac_f32_e32 v29, v3, v77
	v_sub_f32_e32 v3, v5, v12
	v_sub_f32_e32 v12, v6, v13
	;; [unrolled: 1-line block ×5, first 2 shown]
	v_fma_f32 v16, v0, 2.0, -v18
	v_and_or_b32 v0, v22, s4, v86
	s_movk_i32 s4, 0x1fc
	v_lshl_add_u32 v94, v0, 3, v85
	v_and_or_b32 v0, v23, s4, v86
	v_lshl_add_u32 v95, v0, 3, v85
	v_and_or_b32 v0, v24, s12, v86
	v_sub_f32_e32 v2, v4, v27
	v_sub_f32_e32 v27, v10, v17
	;; [unrolled: 1-line block ×3, first 2 shown]
	v_lshl_add_u32 v96, v0, 3, v85
	v_and_or_b32 v0, v25, s12, v86
	v_fma_f32 v4, v4, 2.0, -v2
	v_fma_f32 v5, v5, 2.0, -v3
	;; [unrolled: 1-line block ×9, first 2 shown]
	v_lshl_add_u32 v97, v0, 3, v85
	ds_write2_b64 v94, v[4:5], v[2:3] offset1:2
	ds_write2_b64 v95, v[6:7], v[12:13] offset1:2
	;; [unrolled: 1-line block ×4, first 2 shown]
	s_and_saveexec_b64 s[4:5], s[0:1]
	s_cbranch_execz .LBB0_11
; %bb.10:
	v_and_or_b32 v0, v87, s12, v86
	v_lshl_add_u32 v0, v0, 3, v85
	ds_write2_b64 v0, v[16:17], v[18:19] offset1:2
.LBB0_11:
	s_or_b64 exec, exec, s[4:5]
	v_add_u32_e32 v4, 0x800, v83
	s_waitcnt lgkmcnt(0)
	s_barrier
	ds_read2_b64 v[8:11], v4 offset0:140 offset1:228
	v_add_u32_e32 v4, 0x400, v83
	v_add_u32_e32 v12, 0x1000, v83
	ds_read2_b64 v[0:3], v83 offset1:88
	ds_read2_b64 v[4:7], v4 offset0:48 offset1:136
	ds_read2_b64 v[12:15], v12 offset0:60 offset1:148
	s_and_saveexec_b64 s[4:5], s[0:1]
	s_cbranch_execz .LBB0_13
; %bb.12:
	ds_read_b64 v[16:17], v83 offset:2816
	ds_read_b64 v[18:19], v83 offset:5984
.LBB0_13:
	s_or_b64 exec, exec, s[4:5]
	v_and_b32_e32 v93, 3, v84
	v_lshlrev_b32_e32 v26, 3, v93
	global_load_dwordx2 v[79:80], v26, s[14:15] offset:16
	s_movk_i32 s4, 0xf8
	s_movk_i32 s5, 0x1f8
	;; [unrolled: 1-line block ×3, first 2 shown]
	v_and_or_b32 v22, v22, s4, v93
	v_and_or_b32 v23, v23, s5, v93
	v_and_or_b32 v24, v24, s12, v93
	v_and_or_b32 v25, v25, s12, v93
	v_lshl_add_u32 v101, v22, 3, v85
	v_lshl_add_u32 v100, v23, 3, v85
	;; [unrolled: 1-line block ×4, first 2 shown]
	s_waitcnt vmcnt(0) lgkmcnt(0)
	s_barrier
	v_mul_f32_e32 v22, v9, v80
	v_mul_f32_e32 v23, v8, v80
	;; [unrolled: 1-line block ×10, first 2 shown]
	v_fma_f32 v8, v8, v79, -v22
	v_fmac_f32_e32 v23, v9, v79
	v_fma_f32 v10, v10, v79, -v24
	v_fmac_f32_e32 v25, v11, v79
	;; [unrolled: 2-line block ×5, first 2 shown]
	v_sub_f32_e32 v8, v0, v8
	v_sub_f32_e32 v9, v1, v23
	v_sub_f32_e32 v10, v2, v10
	v_sub_f32_e32 v11, v3, v25
	v_sub_f32_e32 v12, v4, v12
	v_sub_f32_e32 v13, v5, v27
	v_sub_f32_e32 v14, v6, v14
	v_sub_f32_e32 v15, v7, v29
	v_sub_f32_e32 v42, v16, v18
	v_sub_f32_e32 v43, v17, v31
	v_fma_f32 v0, v0, 2.0, -v8
	v_fma_f32 v1, v1, 2.0, -v9
	;; [unrolled: 1-line block ×8, first 2 shown]
	ds_write2_b64 v101, v[0:1], v[8:9] offset1:4
	ds_write2_b64 v100, v[2:3], v[10:11] offset1:4
	;; [unrolled: 1-line block ×4, first 2 shown]
	s_and_saveexec_b64 s[4:5], s[0:1]
	s_cbranch_execz .LBB0_15
; %bb.14:
	v_and_or_b32 v2, v87, s12, v93
	v_fma_f32 v1, v17, 2.0, -v43
	v_fma_f32 v0, v16, 2.0, -v42
	v_lshl_add_u32 v2, v2, 3, v85
	ds_write2_b64 v2, v[0:1], v[42:43] offset1:4
.LBB0_15:
	s_or_b64 exec, exec, s[4:5]
	v_and_b32_e32 v26, 7, v84
	v_lshlrev_b32_e32 v0, 4, v26
	s_waitcnt lgkmcnt(0)
	s_barrier
	global_load_dwordx4 v[0:3], v0, s[14:15] offset:48
	ds_read2_b64 v[6:9], v83 offset1:88
	v_add_u32_e32 v28, 0x400, v83
	v_add_u32_e32 v5, 0x1000, v83
	;; [unrolled: 1-line block ×3, first 2 shown]
	ds_read_b64 v[18:19], v83 offset:5632
	ds_read2_b64 v[10:13], v28 offset0:48 offset1:136
	ds_read2_b64 v[14:17], v5 offset0:16 offset1:104
	;; [unrolled: 1-line block ×3, first 2 shown]
	s_waitcnt vmcnt(0) lgkmcnt(0)
	s_barrier
	s_movk_i32 s4, 0xab
	v_mul_f32_e32 v27, v13, v1
	v_mul_f32_e32 v29, v12, v1
	;; [unrolled: 1-line block ×4, first 2 shown]
	v_fma_f32 v12, v12, v0, -v27
	v_fmac_f32_e32 v29, v13, v0
	v_fma_f32 v13, v14, v2, -v30
	v_mul_f32_e32 v31, v14, v3
	v_mul_f32_e32 v35, v16, v3
	;; [unrolled: 1-line block ×3, first 2 shown]
	v_fmac_f32_e32 v39, v19, v2
	v_add_f32_e32 v19, v12, v13
	v_mul_f32_e32 v32, v23, v1
	v_mul_f32_e32 v33, v22, v1
	v_mul_f32_e32 v34, v17, v3
	v_fmac_f32_e32 v31, v15, v2
	v_fmac_f32_e32 v35, v17, v2
	v_fma_f32 v17, v18, v2, -v38
	v_add_f32_e32 v18, v6, v12
	v_fma_f32 v6, -0.5, v19, v6
	v_fma_f32 v14, v22, v0, -v32
	v_fmac_f32_e32 v33, v23, v0
	v_sub_f32_e32 v27, v29, v31
	v_add_f32_e32 v22, v7, v29
	v_add_f32_e32 v23, v29, v31
	v_sub_f32_e32 v29, v12, v13
	v_add_f32_e32 v12, v18, v13
	v_mov_b32_e32 v18, v6
	v_fmac_f32_e32 v6, 0xbf5db3d7, v27
	v_fmac_f32_e32 v18, 0x3f5db3d7, v27
	v_lshrrev_b32_e32 v27, 3, v84
	v_fma_f32 v7, -0.5, v23, v7
	v_mul_u32_u24_e32 v27, 24, v27
	v_mov_b32_e32 v19, v7
	v_or_b32_e32 v27, v27, v26
	v_add_f32_e32 v13, v22, v31
	v_fmac_f32_e32 v19, 0xbf5db3d7, v29
	v_lshl_add_u32 v102, v27, 3, v85
	v_fmac_f32_e32 v7, 0x3f5db3d7, v29
	ds_write2_b64 v102, v[12:13], v[18:19] offset1:8
	ds_write_b64 v102, v[6:7] offset:128
	v_lshrrev_b32_e32 v6, 3, v21
	v_mul_f32_e32 v37, v24, v1
	v_fma_f32 v15, v16, v2, -v34
	v_mul_u32_u24_e32 v6, 24, v6
	v_mul_f32_e32 v36, v25, v1
	v_fmac_f32_e32 v37, v25, v0
	v_add_f32_e32 v25, v14, v15
	v_sub_f32_e32 v30, v33, v35
	v_add_f32_e32 v32, v9, v33
	v_add_f32_e32 v33, v33, v35
	v_or_b32_e32 v6, v6, v26
	v_fma_f32 v16, v24, v0, -v36
	v_add_f32_e32 v24, v8, v14
	v_fma_f32 v8, -0.5, v25, v8
	v_fmac_f32_e32 v9, -0.5, v33
	v_lshl_add_u32 v103, v6, 3, v85
	v_lshrrev_b32_e32 v6, 3, v20
	v_sub_f32_e32 v34, v14, v15
	v_mov_b32_e32 v22, v8
	v_mov_b32_e32 v23, v9
	v_mul_u32_u24_e32 v6, 24, v6
	v_add_f32_e32 v14, v24, v15
	v_add_f32_e32 v15, v32, v35
	v_fmac_f32_e32 v8, 0xbf5db3d7, v30
	v_fmac_f32_e32 v22, 0x3f5db3d7, v30
	;; [unrolled: 1-line block ×3, first 2 shown]
	v_or_b32_e32 v6, v6, v26
	v_fmac_f32_e32 v9, 0x3f5db3d7, v34
	ds_write2_b64 v103, v[14:15], v[22:23] offset1:8
	ds_write_b64 v103, v[8:9] offset:128
	v_lshl_add_u32 v104, v6, 3, v85
	v_mul_lo_u16_sdwa v6, v84, s4 dst_sel:DWORD dst_unused:UNUSED_PAD src0_sel:BYTE_0 src1_sel:DWORD
	v_mul_lo_u16_sdwa v8, v21, s4 dst_sel:DWORD dst_unused:UNUSED_PAD src0_sel:BYTE_0 src1_sel:DWORD
	v_add_f32_e32 v38, v16, v17
	v_sub_f32_e32 v40, v37, v39
	v_add_f32_e32 v41, v11, v37
	v_add_f32_e32 v37, v37, v39
	v_lshrrev_b16_e32 v29, 12, v6
	v_lshrrev_b16_e32 v31, 12, v8
	v_add_f32_e32 v36, v10, v16
	v_fma_f32 v10, -0.5, v38, v10
	v_fmac_f32_e32 v11, -0.5, v37
	v_mul_lo_u16_e32 v6, 24, v29
	v_mul_lo_u16_e32 v8, 24, v31
	v_sub_f32_e32 v44, v16, v17
	v_mov_b32_e32 v24, v10
	v_mov_b32_e32 v25, v11
	v_sub_u16_e32 v30, v84, v6
	v_mov_b32_e32 v6, 4
	v_sub_u16_e32 v32, v21, v8
	v_add_f32_e32 v16, v36, v17
	v_add_f32_e32 v17, v41, v39
	v_fmac_f32_e32 v10, 0xbf5db3d7, v40
	v_fmac_f32_e32 v11, 0x3f5db3d7, v44
	;; [unrolled: 1-line block ×4, first 2 shown]
	v_lshlrev_b32_sdwa v7, v6, v30 dst_sel:DWORD dst_unused:UNUSED_PAD src0_sel:DWORD src1_sel:BYTE_0
	v_lshlrev_b32_sdwa v6, v6, v32 dst_sel:DWORD dst_unused:UNUSED_PAD src0_sel:DWORD src1_sel:BYTE_0
	s_mov_b32 s4, 0xaaab
	ds_write2_b64 v104, v[16:17], v[24:25] offset1:8
	ds_write_b64 v104, v[10:11] offset:128
	s_waitcnt lgkmcnt(0)
	s_barrier
	global_load_dwordx4 v[12:15], v7, s[14:15] offset:176
	global_load_dwordx4 v[8:11], v6, s[14:15] offset:176
	v_mul_u32_u24_sdwa v6, v20, s4 dst_sel:DWORD dst_unused:UNUSED_PAD src0_sel:WORD_0 src1_sel:DWORD
	v_lshrrev_b32_e32 v33, 20, v6
	v_mul_lo_u16_e32 v6, 24, v33
	v_sub_u16_e32 v34, v20, v6
	v_lshlrev_b16_e32 v6, 4, v34
	v_mov_b32_e32 v7, s15
	v_add_co_u32_e32 v6, vcc, s14, v6
	v_addc_co_u32_e32 v7, vcc, 0, v7, vcc
	global_load_dwordx4 v[24:27], v[6:7], off offset:176
	ds_read2_b64 v[48:51], v28 offset0:48 offset1:136
	ds_read2_b64 v[44:47], v83 offset1:88
	ds_read2_b64 v[16:19], v5 offset0:16 offset1:104
	ds_read2_b64 v[20:23], v4 offset0:96 offset1:184
	ds_read_b64 v[6:7], v83 offset:5632
	s_movk_i32 s4, 0x48
	s_waitcnt vmcnt(0) lgkmcnt(0)
	s_barrier
	v_mul_f32_e32 v28, v51, v13
	v_mul_f32_e32 v35, v50, v13
	v_mul_f32_e32 v36, v17, v15
	v_mul_f32_e32 v39, v16, v15
	v_fma_f32 v28, v50, v12, -v28
	v_fmac_f32_e32 v35, v51, v12
	v_fma_f32 v16, v16, v14, -v36
	v_fmac_f32_e32 v39, v17, v14
	v_mul_f32_e32 v41, v18, v11
	v_mul_f32_e32 v37, v21, v9
	;; [unrolled: 1-line block ×6, first 2 shown]
	v_fmac_f32_e32 v81, v7, v26
	v_add_f32_e32 v7, v44, v28
	v_mul_f32_e32 v52, v23, v25
	v_add_f32_e32 v36, v7, v16
	v_add_f32_e32 v7, v35, v39
	v_mul_f32_e32 v57, v22, v25
	v_fmac_f32_e32 v41, v19, v10
	v_fma_f32 v19, v22, v24, -v52
	v_add_f32_e32 v22, v45, v35
	v_fma_f32 v51, -0.5, v7, v45
	v_fma_f32 v17, v20, v8, -v37
	v_fmac_f32_e32 v40, v21, v8
	v_sub_f32_e32 v21, v35, v39
	v_add_f32_e32 v37, v22, v39
	v_sub_f32_e32 v7, v28, v16
	v_mov_b32_e32 v39, v51
	v_fma_f32 v18, v18, v10, -v38
	v_fmac_f32_e32 v39, 0xbf5db3d7, v7
	v_fmac_f32_e32 v51, 0x3f5db3d7, v7
	v_add_f32_e32 v7, v46, v17
	v_add_f32_e32 v52, v7, v18
	;; [unrolled: 1-line block ×4, first 2 shown]
	v_fma_f32 v46, -0.5, v7, v46
	v_fma_f32 v50, -0.5, v20, v44
	v_sub_f32_e32 v7, v40, v41
	v_mov_b32_e32 v44, v46
	v_fmac_f32_e32 v44, 0x3f5db3d7, v7
	v_fmac_f32_e32 v46, 0xbf5db3d7, v7
	v_add_f32_e32 v7, v47, v40
	v_fma_f32 v6, v6, v26, -v53
	v_add_f32_e32 v53, v7, v41
	v_add_f32_e32 v7, v40, v41
	v_fmac_f32_e32 v47, -0.5, v7
	v_sub_f32_e32 v7, v17, v18
	v_mov_b32_e32 v45, v47
	v_fmac_f32_e32 v45, 0xbf5db3d7, v7
	v_fmac_f32_e32 v47, 0x3f5db3d7, v7
	v_add_f32_e32 v7, v48, v19
	v_add_f32_e32 v54, v7, v6
	;; [unrolled: 1-line block ×3, first 2 shown]
	v_fmac_f32_e32 v57, v23, v24
	v_fma_f32 v48, -0.5, v7, v48
	v_sub_f32_e32 v7, v57, v81
	v_mov_b32_e32 v56, v48
	v_fmac_f32_e32 v56, 0x3f5db3d7, v7
	v_fmac_f32_e32 v48, 0xbf5db3d7, v7
	v_add_f32_e32 v7, v49, v57
	v_add_f32_e32 v55, v7, v81
	v_add_f32_e32 v7, v57, v81
	v_fmac_f32_e32 v49, -0.5, v7
	v_sub_f32_e32 v6, v19, v6
	v_mov_b32_e32 v57, v49
	v_fmac_f32_e32 v57, 0xbf5db3d7, v6
	v_fmac_f32_e32 v49, 0x3f5db3d7, v6
	v_mul_u32_u24_e32 v6, 0x48, v29
	v_add_u32_sdwa v6, v6, v30 dst_sel:DWORD dst_unused:UNUSED_PAD src0_sel:DWORD src1_sel:BYTE_0
	v_lshl_add_u32 v105, v6, 3, v85
	v_mul_u32_u24_e32 v6, 0x48, v31
	v_add_u32_sdwa v6, v6, v32 dst_sel:DWORD dst_unused:UNUSED_PAD src0_sel:DWORD src1_sel:BYTE_0
	v_mov_b32_e32 v38, v50
	v_lshl_add_u32 v106, v6, 3, v85
	v_mad_legacy_u16 v6, v33, s4, v34
	v_fmac_f32_e32 v50, 0xbf5db3d7, v21
	v_fmac_f32_e32 v38, 0x3f5db3d7, v21
	v_lshl_add_u32 v107, v6, 3, v85
	v_cmp_gt_u16_e64 s[4:5], s4, v84
	ds_write2_b64 v105, v[36:37], v[38:39] offset1:24
	ds_write_b64 v105, v[50:51] offset:384
	ds_write2_b64 v106, v[52:53], v[44:45] offset1:24
	ds_write_b64 v106, v[46:47] offset:384
	;; [unrolled: 2-line block ×3, first 2 shown]
	s_waitcnt lgkmcnt(0)
	s_barrier
	s_waitcnt lgkmcnt(0)
                                        ; implicit-def: $vgpr81
	s_and_saveexec_b64 s[16:17], s[4:5]
	s_cbranch_execz .LBB0_17
; %bb.16:
	ds_read2_b64 v[36:39], v83 offset1:72
	ds_read2_b64 v[50:53], v83 offset0:144 offset1:216
	ds_read2_b64 v[44:47], v4 offset0:32 offset1:104
	;; [unrolled: 1-line block ×4, first 2 shown]
	ds_read_b64 v[81:82], v83 offset:5760
	s_waitcnt lgkmcnt(2)
	v_mov_b32_e32 v48, v40
	v_mov_b32_e32 v49, v41
.LBB0_17:
	s_or_b64 exec, exec, s[16:17]
	v_add_u32_e32 v4, 0xffffffb8, v84
	v_cndmask_b32_e64 v4, v4, v84, s[4:5]
	v_mul_hi_i32_i24_e32 v5, 0x50, v4
	v_mul_i32_i24_e32 v4, 0x50, v4
	v_mov_b32_e32 v6, s15
	v_add_co_u32_e32 v40, vcc, s14, v4
	v_addc_co_u32_e32 v41, vcc, v6, v5, vcc
	global_load_dwordx4 v[28:31], v[40:41], off offset:560
	global_load_dwordx4 v[16:19], v[40:41], off offset:576
	;; [unrolled: 1-line block ×5, first 2 shown]
	s_mov_b32 s16, 0x3ed4b147
	s_mov_b32 s18, 0xbf27a4f4
	s_mov_b32 s17, 0xbe11bafb
	s_mov_b32 s12, 0x3f575c64
	s_mov_b32 s19, 0xbf75a155
	s_waitcnt vmcnt(4)
	v_mul_f32_e32 v40, v38, v29
	v_mul_f32_e32 v41, v50, v31
	v_fmac_f32_e32 v40, v39, v28
	v_mul_f32_e32 v115, v39, v29
	s_waitcnt vmcnt(0) lgkmcnt(0)
	v_mul_f32_e32 v116, v81, v35
	v_mul_f32_e32 v114, v42, v33
	v_fmac_f32_e32 v116, v82, v34
	v_mul_f32_e32 v117, v51, v31
	v_mul_f32_e32 v125, v82, v35
	v_fmac_f32_e32 v41, v51, v30
	v_fmac_f32_e32 v114, v43, v32
	v_sub_f32_e32 v130, v40, v116
	v_mul_f32_e32 v118, v53, v17
	v_mul_f32_e32 v113, v48, v23
	;; [unrolled: 1-line block ×3, first 2 shown]
	v_fma_f32 v115, v38, v28, -v115
	v_fma_f32 v39, v50, v30, -v117
	;; [unrolled: 1-line block ×3, first 2 shown]
	v_sub_f32_e32 v135, v41, v114
	v_mul_f32_e32 v117, 0xbf0a6770, v130
	v_mul_f32_e32 v108, v52, v17
	;; [unrolled: 1-line block ×3, first 2 shown]
	v_fma_f32 v50, v52, v16, -v118
	v_fmac_f32_e32 v113, v49, v22
	v_fma_f32 v49, v42, v32, -v124
	v_add_f32_e32 v38, v115, v43
	v_mul_f32_e32 v118, 0xbf68dda4, v135
	v_mov_b32_e32 v52, v117
	v_mul_f32_e32 v109, v44, v19
	v_mul_f32_e32 v120, v47, v5
	;; [unrolled: 1-line block ×3, first 2 shown]
	v_fma_f32 v48, v48, v22, -v123
	v_add_f32_e32 v42, v39, v49
	v_mul_f32_e32 v123, 0xbf68dda4, v130
	v_mov_b32_e32 v82, v118
	v_fmac_f32_e32 v52, 0x3f575c64, v38
	v_mul_f32_e32 v119, v45, v19
	v_mul_f32_e32 v110, v46, v5
	;; [unrolled: 1-line block ×3, first 2 shown]
	v_fmac_f32_e32 v109, v45, v18
	v_fma_f32 v45, v46, v4, -v120
	v_fma_f32 v46, v54, v6, -v121
	v_sub_f32_e32 v137, v115, v43
	v_mov_b32_e32 v54, v123
	v_fmac_f32_e32 v82, 0x3ed4b147, v42
	v_add_f32_e32 v52, v36, v52
	v_mul_f32_e32 v129, 0xbf4178ce, v135
	v_add_f32_e32 v51, v40, v116
	v_sub_f32_e32 v140, v39, v49
	v_mul_f32_e32 v124, 0xbf68dda4, v137
	v_fmac_f32_e32 v54, 0x3ed4b147, v38
	v_add_f32_e32 v52, v82, v52
	v_mov_b32_e32 v82, v129
	v_mul_f32_e32 v122, v57, v21
	v_fmac_f32_e32 v111, v55, v6
	v_add_f32_e32 v81, v41, v114
	v_mul_f32_e32 v127, 0xbf7d64f0, v130
	v_fma_f32 v55, v51, s16, -v124
	v_add_f32_e32 v54, v36, v54
	v_mul_f32_e32 v134, 0xbf4178ce, v140
	v_fmac_f32_e32 v82, 0xbf27a4f4, v42
	v_mul_f32_e32 v112, v56, v21
	v_fmac_f32_e32 v110, v47, v4
	v_fma_f32 v47, v56, v20, -v122
	v_mov_b32_e32 v56, v127
	v_add_f32_e32 v55, v37, v55
	v_add_f32_e32 v54, v82, v54
	v_fma_f32 v82, v81, s18, -v134
	v_mul_f32_e32 v139, 0x3e903f40, v135
	v_fmac_f32_e32 v108, v53, v16
	v_mul_f32_e32 v131, 0xbf7d64f0, v137
	v_fmac_f32_e32 v56, 0xbe11bafb, v38
	v_add_f32_e32 v55, v82, v55
	v_mov_b32_e32 v82, v139
	v_fma_f32 v44, v44, v18, -v119
	v_fmac_f32_e32 v112, v57, v20
	v_mul_f32_e32 v119, 0xbf0a6770, v137
	v_fma_f32 v57, v51, s17, -v131
	v_add_f32_e32 v56, v36, v56
	v_mul_f32_e32 v143, 0x3e903f40, v140
	v_fmac_f32_e32 v82, 0xbf75a155, v42
	v_sub_f32_e32 v149, v108, v113
	v_mul_f32_e32 v121, 0xbf68dda4, v140
	v_fma_f32 v53, v51, s12, -v119
	v_add_f32_e32 v57, v37, v57
	v_add_f32_e32 v56, v82, v56
	v_fma_f32 v82, v81, s19, -v143
	v_mul_f32_e32 v128, 0xbf7d64f0, v149
	v_fma_f32 v120, v81, s16, -v121
	v_add_f32_e32 v53, v37, v53
	v_add_f32_e32 v57, v82, v57
	;; [unrolled: 1-line block ×3, first 2 shown]
	v_sub_f32_e32 v153, v50, v48
	v_mov_b32_e32 v122, v128
	v_add_f32_e32 v53, v120, v53
	v_add_f32_e32 v120, v108, v113
	v_mul_f32_e32 v132, 0xbf7d64f0, v153
	v_fmac_f32_e32 v122, 0xbe11bafb, v82
	v_add_f32_e32 v52, v122, v52
	v_fma_f32 v122, v120, s17, -v132
	v_mul_f32_e32 v138, 0x3e903f40, v149
	v_add_f32_e32 v53, v122, v53
	v_mov_b32_e32 v122, v138
	v_mul_f32_e32 v142, 0x3e903f40, v153
	v_fmac_f32_e32 v122, 0xbf75a155, v82
	v_add_f32_e32 v54, v122, v54
	v_fma_f32 v122, v120, s19, -v142
	v_mul_f32_e32 v146, 0x3f68dda4, v149
	v_add_f32_e32 v55, v122, v55
	v_mov_b32_e32 v122, v146
	v_mul_f32_e32 v150, 0x3f68dda4, v153
	v_fmac_f32_e32 v122, 0x3ed4b147, v82
	v_sub_f32_e32 v154, v109, v112
	v_add_f32_e32 v56, v122, v56
	v_fma_f32 v122, v120, s16, -v150
	v_mul_f32_e32 v136, 0xbf4178ce, v154
	v_add_f32_e32 v57, v122, v57
	v_add_f32_e32 v122, v44, v47
	v_sub_f32_e32 v157, v44, v47
	v_mov_b32_e32 v126, v136
	v_add_f32_e32 v125, v109, v112
	v_mul_f32_e32 v141, 0xbf4178ce, v157
	v_fmac_f32_e32 v126, 0xbf27a4f4, v122
	v_add_f32_e32 v52, v126, v52
	v_fma_f32 v126, v125, s18, -v141
	v_mul_f32_e32 v145, 0x3f7d64f0, v154
	v_add_f32_e32 v53, v126, v53
	v_mov_b32_e32 v126, v145
	v_mul_f32_e32 v148, 0x3f7d64f0, v157
	v_fmac_f32_e32 v126, 0xbe11bafb, v122
	v_add_f32_e32 v54, v126, v54
	v_fma_f32 v126, v125, s17, -v148
	v_mul_f32_e32 v152, 0xbf0a6770, v154
	v_add_f32_e32 v55, v126, v55
	v_mov_b32_e32 v126, v152
	v_mul_f32_e32 v156, 0xbf0a6770, v157
	v_fmac_f32_e32 v126, 0x3f575c64, v122
	v_sub_f32_e32 v159, v110, v111
	v_add_f32_e32 v162, v126, v56
	v_fma_f32 v56, v125, s12, -v156
	v_mul_f32_e32 v144, 0xbe903f40, v159
	v_add_f32_e32 v163, v56, v57
	v_add_f32_e32 v126, v45, v46
	v_sub_f32_e32 v161, v45, v46
	v_mov_b32_e32 v56, v144
	v_add_f32_e32 v133, v110, v111
	v_mul_f32_e32 v147, 0xbe903f40, v161
	v_fmac_f32_e32 v56, 0xbf75a155, v126
	v_add_f32_e32 v56, v56, v52
	v_fma_f32 v52, v133, s19, -v147
	v_mul_f32_e32 v151, 0x3f0a6770, v159
	v_add_f32_e32 v57, v52, v53
	v_mov_b32_e32 v52, v151
	v_mul_f32_e32 v155, 0x3f0a6770, v161
	v_fmac_f32_e32 v52, 0x3f575c64, v126
	v_mul_f32_e32 v158, 0xbf4178ce, v159
	v_add_f32_e32 v52, v52, v54
	v_fma_f32 v53, v133, s12, -v155
	v_mul_f32_e32 v160, 0xbf4178ce, v161
	v_mov_b32_e32 v54, v158
	v_add_f32_e32 v53, v53, v55
	v_fmac_f32_e32 v54, 0xbf27a4f4, v126
	v_fma_f32 v55, v133, s18, -v160
	v_add_f32_e32 v54, v54, v162
	v_add_f32_e32 v55, v55, v163
	s_and_saveexec_b64 s[14:15], s[4:5]
	s_cbranch_execz .LBB0_19
; %bb.18:
	v_mul_f32_e32 v164, 0xbf75a155, v51
	v_mov_b32_e32 v162, v164
	v_mul_f32_e32 v165, 0x3f575c64, v81
	v_fmac_f32_e32 v162, 0x3e903f40, v137
	v_mov_b32_e32 v163, v165
	v_add_f32_e32 v162, v37, v162
	v_fmac_f32_e32 v163, 0xbf0a6770, v140
	v_mul_f32_e32 v166, 0xbf27a4f4, v120
	v_add_f32_e32 v162, v163, v162
	v_mov_b32_e32 v163, v166
	v_fmac_f32_e32 v163, 0x3f4178ce, v153
	v_mul_f32_e32 v167, 0x3ed4b147, v125
	v_add_f32_e32 v162, v163, v162
	v_mov_b32_e32 v163, v167
	;; [unrolled: 4-line block ×4, first 2 shown]
	v_mul_f32_e32 v200, 0x3f0a6770, v135
	v_fmac_f32_e32 v162, 0xbf75a155, v38
	v_mov_b32_e32 v201, v200
	v_fmac_f32_e32 v164, 0xbe903f40, v137
	v_add_f32_e32 v162, v36, v162
	v_fmac_f32_e32 v201, 0x3f575c64, v42
	v_add_f32_e32 v164, v37, v164
	;; [unrolled: 2-line block ×3, first 2 shown]
	v_mul_f32_e32 v201, 0xbf4178ce, v149
	v_add_f32_e32 v164, v165, v164
	v_fmac_f32_e32 v166, 0xbf4178ce, v153
	v_mov_b32_e32 v202, v201
	v_add_f32_e32 v164, v166, v164
	v_fmac_f32_e32 v167, 0x3f68dda4, v157
	v_fmac_f32_e32 v202, 0xbf27a4f4, v82
	v_add_f32_e32 v164, v167, v164
	v_fmac_f32_e32 v198, 0xbf7d64f0, v161
	v_add_f32_e32 v162, v202, v162
	v_mul_f32_e32 v202, 0x3f68dda4, v154
	v_add_f32_e32 v165, v198, v164
	v_fma_f32 v164, v38, s19, -v199
	v_mov_b32_e32 v203, v202
	v_add_f32_e32 v164, v36, v164
	v_fma_f32 v166, v42, s12, -v200
	v_fmac_f32_e32 v203, 0x3ed4b147, v122
	v_add_f32_e32 v164, v166, v164
	v_fma_f32 v166, v82, s18, -v201
	v_add_f32_e32 v162, v203, v162
	v_mul_f32_e32 v203, 0xbf7d64f0, v159
	v_add_f32_e32 v164, v166, v164
	v_fma_f32 v166, v122, s16, -v202
	v_add_f32_e32 v164, v166, v164
	v_fma_f32 v166, v126, s17, -v203
	v_mul_f32_e32 v137, 0xbf4178ce, v137
	v_add_f32_e32 v164, v166, v164
	v_mov_b32_e32 v166, v137
	v_mul_f32_e32 v140, 0x3f7d64f0, v140
	v_fmac_f32_e32 v166, 0xbf27a4f4, v51
	v_mov_b32_e32 v167, v140
	v_add_f32_e32 v166, v37, v166
	v_fmac_f32_e32 v167, 0xbe11bafb, v81
	v_mul_f32_e32 v153, 0xbf0a6770, v153
	v_add_f32_e32 v166, v167, v166
	v_mov_b32_e32 v167, v153
	v_fmac_f32_e32 v167, 0x3f575c64, v120
	v_mul_f32_e32 v157, 0xbe903f40, v157
	v_add_f32_e32 v166, v167, v166
	v_mov_b32_e32 v167, v157
	;; [unrolled: 4-line block ×3, first 2 shown]
	v_mul_f32_e32 v198, 0xbf4178ce, v130
	v_fmac_f32_e32 v167, 0x3ed4b147, v133
	v_fma_f32 v130, v38, s18, -v198
	v_mul_f32_e32 v135, 0x3f7d64f0, v135
	v_add_f32_e32 v167, v167, v166
	v_add_f32_e32 v130, v36, v130
	v_fma_f32 v166, v42, s17, -v135
	v_mul_f32_e32 v149, 0xbf0a6770, v149
	v_add_f32_e32 v130, v166, v130
	v_fma_f32 v166, v82, s12, -v149
	v_mul_f32_e32 v154, 0xbe903f40, v154
	;; [unrolled: 3-line block ×3, first 2 shown]
	v_mul_f32_e32 v173, 0xbe11bafb, v51
	v_add_f32_e32 v130, v166, v130
	v_fma_f32 v166, v126, s16, -v159
	v_mul_f32_e32 v179, 0xbf75a155, v81
	v_add_f32_e32 v166, v166, v130
	v_add_f32_e32 v130, v131, v173
	v_mul_f32_e32 v185, 0x3ed4b147, v120
	v_add_f32_e32 v130, v37, v130
	v_add_f32_e32 v131, v143, v179
	;; [unrolled: 3-line block ×3, first 2 shown]
	v_mul_f32_e32 v172, 0xbe11bafb, v38
	v_mul_f32_e32 v197, 0xbf27a4f4, v133
	v_add_f32_e32 v130, v131, v130
	v_add_f32_e32 v131, v156, v191
	;; [unrolled: 1-line block ×3, first 2 shown]
	v_mul_f32_e32 v178, 0xbf75a155, v42
	v_add_f32_e32 v130, v131, v130
	v_add_f32_e32 v131, v160, v197
	v_sub_f32_e32 v127, v172, v127
	v_add_f32_e32 v40, v40, v41
	v_add_f32_e32 v41, v36, v115
	v_mul_f32_e32 v184, 0x3ed4b147, v82
	v_add_f32_e32 v131, v131, v130
	v_add_f32_e32 v127, v36, v127
	v_sub_f32_e32 v130, v178, v139
	v_add_f32_e32 v39, v41, v39
	v_mul_f32_e32 v190, 0x3f575c64, v122
	v_add_f32_e32 v127, v130, v127
	v_sub_f32_e32 v130, v184, v146
	v_add_f32_e32 v40, v40, v108
	v_add_f32_e32 v39, v39, v50
	v_mul_f32_e32 v171, 0x3ed4b147, v51
	v_mul_f32_e32 v196, 0xbf27a4f4, v126
	v_add_f32_e32 v127, v130, v127
	v_sub_f32_e32 v130, v190, v152
	v_add_f32_e32 v40, v40, v109
	v_add_f32_e32 v39, v39, v44
	v_mul_f32_e32 v177, 0xbf27a4f4, v81
	v_add_f32_e32 v127, v130, v127
	v_sub_f32_e32 v130, v196, v158
	v_add_f32_e32 v124, v124, v171
	v_add_f32_e32 v40, v40, v110
	;; [unrolled: 1-line block ×3, first 2 shown]
	v_mul_f32_e32 v183, 0xbf75a155, v120
	v_add_f32_e32 v130, v130, v127
	v_add_f32_e32 v124, v37, v124
	;; [unrolled: 1-line block ×5, first 2 shown]
	v_mul_f32_e32 v168, 0x3f575c64, v38
	v_mul_f32_e32 v169, 0x3f575c64, v51
	;; [unrolled: 1-line block ×4, first 2 shown]
	v_add_f32_e32 v124, v127, v124
	v_add_f32_e32 v127, v142, v183
	;; [unrolled: 1-line block ×4, first 2 shown]
	v_mul_f32_e32 v195, 0x3f575c64, v133
	v_add_f32_e32 v124, v127, v124
	v_add_f32_e32 v127, v148, v189
	v_sub_f32_e32 v123, v170, v123
	v_add_f32_e32 v119, v119, v169
	v_sub_f32_e32 v117, v168, v117
	v_add_f32_e32 v40, v40, v113
	v_add_f32_e32 v39, v39, v48
	v_fma_f32 v41, v51, s18, -v137
	v_fmac_f32_e32 v198, 0xbf27a4f4, v38
	v_mul_f32_e32 v174, 0x3ed4b147, v42
	v_mul_f32_e32 v175, 0x3ed4b147, v81
	;; [unrolled: 1-line block ×3, first 2 shown]
	v_add_f32_e32 v124, v127, v124
	v_add_f32_e32 v127, v155, v195
	;; [unrolled: 1-line block ×8, first 2 shown]
	v_fma_f32 v41, v81, s17, -v140
	v_add_f32_e32 v36, v36, v198
	v_fmac_f32_e32 v135, 0xbe11bafb, v42
	v_mul_f32_e32 v180, 0xbe11bafb, v82
	v_mul_f32_e32 v181, 0xbe11bafb, v120
	v_mul_f32_e32 v182, 0xbf75a155, v82
	v_mov_b32_e32 v204, v203
	v_add_f32_e32 v124, v127, v124
	v_sub_f32_e32 v127, v176, v129
	v_add_f32_e32 v121, v121, v175
	v_sub_f32_e32 v118, v174, v118
	v_add_f32_e32 v40, v40, v116
	v_add_f32_e32 v39, v39, v43
	;; [unrolled: 1-line block ×3, first 2 shown]
	v_fma_f32 v41, v120, s12, -v153
	v_add_f32_e32 v36, v135, v36
	v_fmac_f32_e32 v149, 0x3f575c64, v82
	v_lshl_add_u32 v38, v84, 3, v85
	v_mul_f32_e32 v186, 0xbf27a4f4, v122
	v_mul_f32_e32 v187, 0xbf27a4f4, v125
	;; [unrolled: 1-line block ×3, first 2 shown]
	v_fmac_f32_e32 v204, 0xbe11bafb, v126
	v_add_f32_e32 v123, v127, v123
	v_sub_f32_e32 v127, v182, v138
	v_add_f32_e32 v119, v121, v119
	v_add_f32_e32 v121, v132, v181
	;; [unrolled: 1-line block ×3, first 2 shown]
	v_sub_f32_e32 v118, v180, v128
	v_add_f32_e32 v37, v41, v37
	v_fma_f32 v41, v125, s19, -v157
	v_add_f32_e32 v36, v149, v36
	v_fmac_f32_e32 v154, 0xbf75a155, v122
	ds_write_b64 v83, v[39:40]
	v_add_u32_e32 v39, 0x400, v38
	v_mul_f32_e32 v192, 0xbf75a155, v126
	v_mul_f32_e32 v193, 0xbf75a155, v133
	;; [unrolled: 1-line block ×3, first 2 shown]
	v_add_f32_e32 v162, v204, v162
	v_add_f32_e32 v123, v127, v123
	v_sub_f32_e32 v127, v188, v145
	v_add_f32_e32 v119, v121, v119
	v_add_f32_e32 v121, v141, v187
	;; [unrolled: 1-line block ×3, first 2 shown]
	v_sub_f32_e32 v118, v186, v136
	v_add_f32_e32 v37, v41, v37
	v_fma_f32 v41, v133, s16, -v161
	v_add_f32_e32 v36, v154, v36
	v_fmac_f32_e32 v159, 0x3ed4b147, v126
	ds_write2_b64 v39, v[130:131], v[166:167] offset0:88 offset1:160
	v_add_u32_e32 v39, 0x800, v38
	v_add_f32_e32 v123, v127, v123
	v_sub_f32_e32 v127, v194, v151
	v_add_f32_e32 v119, v121, v119
	v_add_f32_e32 v121, v147, v193
	;; [unrolled: 1-line block ×3, first 2 shown]
	v_sub_f32_e32 v118, v192, v144
	v_add_f32_e32 v37, v41, v37
	v_add_f32_e32 v36, v159, v36
	ds_write2_b64 v39, v[164:165], v[162:163] offset0:104 offset1:176
	v_add_u32_e32 v39, 0xc00, v38
	v_add_f32_e32 v123, v127, v123
	v_add_f32_e32 v119, v121, v119
	;; [unrolled: 1-line block ×3, first 2 shown]
	ds_write2_b64 v39, v[36:37], v[54:55] offset0:120 offset1:192
	v_add_u32_e32 v36, 0x1000, v38
	ds_write2_b64 v38, v[118:119], v[123:124] offset0:72 offset1:144
	ds_write2_b64 v36, v[52:53], v[56:57] offset0:136 offset1:208
.LBB0_19:
	s_or_b64 exec, exec, s[14:15]
	v_mov_b32_e32 v36, s13
	v_addc_co_u32_e64 v40, vcc, 0, v36, s[2:3]
	v_add_co_u32_e32 v36, vcc, 0x18c0, v58
	v_addc_co_u32_e32 v37, vcc, 0, v40, vcc
	v_add_co_u32_e32 v38, vcc, 0x1000, v58
	v_addc_co_u32_e32 v39, vcc, 0, v40, vcc
	s_movk_i32 s2, 0x2000
	s_waitcnt lgkmcnt(0)
	s_barrier
	global_load_dwordx2 v[49:50], v[38:39], off offset:2240
	global_load_dwordx2 v[81:82], v[36:37], off offset:3168
	;; [unrolled: 1-line block ×3, first 2 shown]
	v_add_co_u32_e32 v38, vcc, s2, v58
	v_addc_co_u32_e32 v39, vcc, 0, v40, vcc
	global_load_dwordx2 v[118:119], v[38:39], off offset:2720
	global_load_dwordx2 v[120:121], v[38:39], off offset:3424
	;; [unrolled: 1-line block ×5, first 2 shown]
	ds_read2_b64 v[40:43], v83 offset1:88
	v_add_u32_e32 v39, 0x800, v83
	v_add_u32_e32 v38, 0x400, v83
	;; [unrolled: 1-line block ×3, first 2 shown]
	ds_read2_b64 v[45:48], v39 offset0:140 offset1:228
	ds_read2_b64 v[108:111], v38 offset0:48 offset1:136
	;; [unrolled: 1-line block ×3, first 2 shown]
	s_waitcnt vmcnt(7) lgkmcnt(3)
	v_mul_f32_e32 v129, v41, v50
	v_mul_f32_e32 v51, v40, v50
	s_waitcnt vmcnt(6) lgkmcnt(2)
	v_mul_f32_e32 v131, v46, v82
	v_mul_f32_e32 v128, v45, v82
	s_waitcnt vmcnt(5)
	v_mul_f32_e32 v132, v43, v117
	v_mul_f32_e32 v82, v42, v117
	s_waitcnt vmcnt(2)
	v_mul_f32_e32 v133, v48, v123
	v_mul_f32_e32 v117, v47, v123
	s_waitcnt vmcnt(1) lgkmcnt(1)
	v_mul_f32_e32 v134, v109, v125
	v_mul_f32_e32 v123, v108, v125
	s_waitcnt lgkmcnt(0)
	v_mul_f32_e32 v135, v113, v119
	v_mul_f32_e32 v125, v112, v119
	s_waitcnt vmcnt(0)
	v_mul_f32_e32 v136, v111, v127
	v_mul_f32_e32 v119, v110, v127
	;; [unrolled: 1-line block ×4, first 2 shown]
	v_fma_f32 v50, v40, v49, -v129
	v_fmac_f32_e32 v51, v41, v49
	v_fma_f32 v127, v45, v81, -v131
	v_fmac_f32_e32 v128, v46, v81
	;; [unrolled: 2-line block ×8, first 2 shown]
	ds_write2_b64 v83, v[50:51], v[81:82] offset1:88
	ds_write2_b64 v39, v[127:128], v[116:117] offset0:140 offset1:228
	ds_write2_b64 v38, v[122:123], v[118:119] offset0:48 offset1:136
	;; [unrolled: 1-line block ×3, first 2 shown]
	s_and_saveexec_b64 s[2:3], s[0:1]
	s_cbranch_execz .LBB0_21
; %bb.20:
	global_load_dwordx2 v[40:41], v[36:37], off offset:2816
	v_add_co_u32_e32 v36, vcc, 0x1000, v36
	v_addc_co_u32_e32 v37, vcc, 0, v37, vcc
	global_load_dwordx2 v[36:37], v[36:37], off offset:1888
	ds_read_b64 v[42:43], v83 offset:2816
	ds_read_b64 v[45:46], v83 offset:5984
	s_waitcnt vmcnt(1) lgkmcnt(1)
	v_mul_f32_e32 v47, v43, v41
	v_mul_f32_e32 v48, v42, v41
	v_fma_f32 v47, v42, v40, -v47
	v_fmac_f32_e32 v48, v43, v40
	ds_write_b64 v83, v[47:48] offset:2816
	s_waitcnt vmcnt(0) lgkmcnt(1)
	v_mul_f32_e32 v40, v46, v37
	v_mul_f32_e32 v41, v45, v37
	v_fma_f32 v40, v45, v36, -v40
	v_fmac_f32_e32 v41, v46, v36
	ds_write_b64 v83, v[40:41] offset:5984
.LBB0_21:
	s_or_b64 exec, exec, s[2:3]
	s_waitcnt lgkmcnt(0)
	s_barrier
	ds_read2_b64 v[40:43], v83 offset1:88
	ds_read2_b64 v[48:51], v39 offset0:140 offset1:228
	ds_read2_b64 v[36:39], v38 offset0:48 offset1:136
	ds_read2_b64 v[44:47], v44 offset0:60 offset1:148
	s_and_saveexec_b64 s[2:3], s[0:1]
	s_cbranch_execz .LBB0_23
; %bb.22:
	ds_read_b64 v[54:55], v83 offset:2816
	ds_read_b64 v[52:53], v83 offset:5984
.LBB0_23:
	s_or_b64 exec, exec, s[2:3]
	s_waitcnt lgkmcnt(2)
	v_sub_f32_e32 v50, v42, v50
	v_sub_f32_e32 v51, v43, v51
	s_waitcnt lgkmcnt(0)
	v_sub_f32_e32 v46, v38, v46
	v_sub_f32_e32 v47, v39, v47
	;; [unrolled: 1-line block ×4, first 2 shown]
	v_fma_f32 v48, v42, 2.0, -v50
	v_fma_f32 v49, v43, 2.0, -v51
	v_sub_f32_e32 v42, v36, v44
	v_sub_f32_e32 v43, v37, v45
	v_fma_f32 v44, v38, 2.0, -v46
	v_fma_f32 v45, v39, 2.0, -v47
	v_sub_f32_e32 v38, v54, v52
	v_sub_f32_e32 v39, v55, v53
	v_fma_f32 v108, v40, 2.0, -v110
	v_fma_f32 v109, v41, 2.0, -v111
	;; [unrolled: 1-line block ×6, first 2 shown]
	s_barrier
	ds_write_b128 v88, v[108:111]
	ds_write_b128 v90, v[48:51]
	;; [unrolled: 1-line block ×4, first 2 shown]
	s_and_saveexec_b64 s[2:3], s[0:1]
	s_cbranch_execz .LBB0_25
; %bb.24:
	ds_write_b128 v89, v[36:39]
.LBB0_25:
	s_or_b64 exec, exec, s[2:3]
	v_add_u32_e32 v44, 0x800, v83
	s_waitcnt lgkmcnt(0)
	s_barrier
	ds_read2_b64 v[52:55], v44 offset0:140 offset1:228
	v_add_u32_e32 v44, 0x400, v83
	v_add_u32_e32 v48, 0x1000, v83
	ds_read2_b64 v[40:43], v83 offset1:88
	ds_read2_b64 v[44:47], v44 offset0:48 offset1:136
	ds_read2_b64 v[48:51], v48 offset0:60 offset1:148
	s_and_saveexec_b64 s[2:3], s[0:1]
	s_cbranch_execz .LBB0_27
; %bb.26:
	ds_read_b64 v[36:37], v83 offset:2816
	ds_read_b64 v[38:39], v83 offset:5984
.LBB0_27:
	s_or_b64 exec, exec, s[2:3]
	s_waitcnt lgkmcnt(3)
	v_mul_f32_e32 v81, v78, v53
	v_fmac_f32_e32 v81, v77, v52
	v_mul_f32_e32 v52, v78, v52
	v_fma_f32 v52, v77, v53, -v52
	v_mul_f32_e32 v53, v78, v55
	v_fmac_f32_e32 v53, v77, v54
	v_mul_f32_e32 v54, v78, v54
	v_fma_f32 v54, v77, v55, -v54
	s_waitcnt lgkmcnt(0)
	v_mul_f32_e32 v55, v78, v49
	v_mul_f32_e32 v90, v78, v39
	v_fmac_f32_e32 v55, v77, v48
	v_mul_f32_e32 v48, v78, v48
	v_fmac_f32_e32 v90, v77, v38
	v_mul_f32_e32 v38, v78, v38
	v_fma_f32 v82, v77, v49, -v48
	v_mul_f32_e32 v88, v78, v51
	v_mul_f32_e32 v48, v78, v50
	v_fma_f32 v91, v77, v39, -v38
	v_fmac_f32_e32 v88, v77, v50
	v_fma_f32 v89, v77, v51, -v48
	v_sub_f32_e32 v38, v40, v81
	v_sub_f32_e32 v39, v41, v52
	v_sub_f32_e32 v49, v43, v54
	v_sub_f32_e32 v50, v44, v55
	v_sub_f32_e32 v54, v36, v90
	v_sub_f32_e32 v55, v37, v91
	v_fma_f32 v40, v40, 2.0, -v38
	v_fma_f32 v41, v41, 2.0, -v39
	v_sub_f32_e32 v48, v42, v53
	v_sub_f32_e32 v51, v45, v82
	;; [unrolled: 1-line block ×4, first 2 shown]
	v_fma_f32 v52, v36, 2.0, -v54
	v_fma_f32 v53, v37, 2.0, -v55
	;; [unrolled: 1-line block ×8, first 2 shown]
	s_barrier
	ds_write2_b64 v94, v[40:41], v[38:39] offset1:2
	ds_write2_b64 v95, v[42:43], v[48:49] offset1:2
	;; [unrolled: 1-line block ×4, first 2 shown]
	s_and_saveexec_b64 s[2:3], s[0:1]
	s_cbranch_execz .LBB0_29
; %bb.28:
	s_movk_i32 s12, 0x3fc
	v_and_or_b32 v36, v87, s12, v86
	v_lshl_add_u32 v36, v36, 3, v85
	ds_write2_b64 v36, v[52:53], v[54:55] offset1:2
.LBB0_29:
	s_or_b64 exec, exec, s[2:3]
	v_add_u32_e32 v40, 0x800, v83
	s_waitcnt lgkmcnt(0)
	s_barrier
	ds_read2_b64 v[48:51], v40 offset0:140 offset1:228
	v_add_u32_e32 v40, 0x400, v83
	v_add_u32_e32 v44, 0x1000, v83
	ds_read2_b64 v[36:39], v83 offset1:88
	ds_read2_b64 v[40:43], v40 offset0:48 offset1:136
	ds_read2_b64 v[44:47], v44 offset0:60 offset1:148
	s_and_saveexec_b64 s[2:3], s[0:1]
	s_cbranch_execz .LBB0_31
; %bb.30:
	ds_read_b64 v[52:53], v83 offset:2816
	ds_read_b64 v[54:55], v83 offset:5984
.LBB0_31:
	s_or_b64 exec, exec, s[2:3]
	s_waitcnt lgkmcnt(3)
	v_mul_f32_e32 v77, v80, v49
	v_fmac_f32_e32 v77, v79, v48
	v_mul_f32_e32 v48, v80, v48
	v_fma_f32 v48, v79, v49, -v48
	v_mul_f32_e32 v49, v80, v51
	v_fmac_f32_e32 v49, v79, v50
	v_mul_f32_e32 v50, v80, v50
	v_fma_f32 v50, v79, v51, -v50
	s_waitcnt lgkmcnt(0)
	v_mul_f32_e32 v51, v80, v45
	v_fmac_f32_e32 v51, v79, v44
	v_mul_f32_e32 v44, v80, v44
	v_fma_f32 v78, v79, v45, -v44
	v_mul_f32_e32 v44, v80, v46
	v_mul_f32_e32 v81, v80, v47
	v_fma_f32 v82, v79, v47, -v44
	v_mul_f32_e32 v86, v80, v55
	v_mul_f32_e32 v44, v80, v54
	v_fmac_f32_e32 v81, v79, v46
	v_fmac_f32_e32 v86, v79, v54
	v_fma_f32 v79, v79, v55, -v44
	v_sub_f32_e32 v44, v36, v77
	v_sub_f32_e32 v45, v37, v48
	;; [unrolled: 1-line block ×4, first 2 shown]
	v_fma_f32 v36, v36, 2.0, -v44
	v_fma_f32 v37, v37, 2.0, -v45
	;; [unrolled: 1-line block ×4, first 2 shown]
	v_sub_f32_e32 v50, v40, v51
	v_sub_f32_e32 v51, v41, v78
	;; [unrolled: 1-line block ×6, first 2 shown]
	v_fma_f32 v40, v40, 2.0, -v50
	v_fma_f32 v41, v41, 2.0, -v51
	;; [unrolled: 1-line block ×4, first 2 shown]
	s_barrier
	ds_write2_b64 v101, v[36:37], v[44:45] offset1:4
	ds_write2_b64 v100, v[48:49], v[46:47] offset1:4
	;; [unrolled: 1-line block ×4, first 2 shown]
	s_and_saveexec_b64 s[2:3], s[0:1]
	s_cbranch_execz .LBB0_33
; %bb.32:
	s_movk_i32 s12, 0x3f8
	v_and_or_b32 v40, v87, s12, v93
	v_fma_f32 v37, v53, 2.0, -v39
	v_fma_f32 v36, v52, 2.0, -v38
	v_lshl_add_u32 v40, v40, 3, v85
	ds_write2_b64 v40, v[36:37], v[38:39] offset1:4
.LBB0_33:
	s_or_b64 exec, exec, s[2:3]
	v_add_u32_e32 v37, 0x400, v83
	s_waitcnt lgkmcnt(0)
	s_barrier
	ds_read2_b64 v[44:47], v37 offset0:48 offset1:136
	v_add_u32_e32 v36, 0x1000, v83
	ds_read2_b64 v[49:52], v36 offset0:16 offset1:104
	v_add_u32_e32 v48, 0x800, v83
	ds_read2_b64 v[40:43], v83 offset1:88
	ds_read2_b64 v[77:80], v48 offset0:96 offset1:184
	ds_read_b64 v[53:54], v83 offset:5632
	s_waitcnt lgkmcnt(4)
	v_mul_f32_e32 v55, v1, v47
	v_fmac_f32_e32 v55, v0, v46
	v_mul_f32_e32 v46, v1, v46
	v_fma_f32 v46, v0, v47, -v46
	s_waitcnt lgkmcnt(3)
	v_mul_f32_e32 v47, v3, v50
	v_fmac_f32_e32 v47, v2, v49
	v_mul_f32_e32 v49, v3, v49
	v_fma_f32 v49, v2, v50, -v49
	;; [unrolled: 5-line block ×3, first 2 shown]
	v_mul_f32_e32 v78, v3, v52
	v_mul_f32_e32 v81, v1, v80
	;; [unrolled: 1-line block ×3, first 2 shown]
	v_fmac_f32_e32 v78, v2, v51
	v_mul_f32_e32 v51, v3, v51
	v_fmac_f32_e32 v81, v0, v79
	v_fma_f32 v79, v0, v80, -v1
	s_waitcnt lgkmcnt(0)
	v_mul_f32_e32 v80, v3, v54
	v_mul_f32_e32 v0, v3, v53
	v_add_f32_e32 v1, v55, v47
	v_fma_f32 v51, v2, v52, -v51
	v_fmac_f32_e32 v80, v2, v53
	v_fma_f32 v54, v2, v54, -v0
	v_fma_f32 v2, -0.5, v1, v40
	v_add_f32_e32 v3, v46, v49
	v_add_f32_e32 v0, v40, v55
	v_sub_f32_e32 v1, v46, v49
	v_mov_b32_e32 v40, v2
	v_fma_f32 v3, -0.5, v3, v41
	v_add_f32_e32 v0, v0, v47
	v_fmac_f32_e32 v40, 0xbf5db3d7, v1
	v_fmac_f32_e32 v2, 0x3f5db3d7, v1
	v_add_f32_e32 v1, v41, v46
	v_sub_f32_e32 v46, v55, v47
	v_mov_b32_e32 v41, v3
	v_add_f32_e32 v47, v50, v78
	v_fmac_f32_e32 v41, 0x3f5db3d7, v46
	v_fmac_f32_e32 v3, 0xbf5db3d7, v46
	v_add_f32_e32 v46, v42, v50
	v_fma_f32 v42, -0.5, v47, v42
	v_add_f32_e32 v1, v1, v49
	v_sub_f32_e32 v47, v77, v51
	v_mov_b32_e32 v49, v42
	v_fmac_f32_e32 v49, 0xbf5db3d7, v47
	v_fmac_f32_e32 v42, 0x3f5db3d7, v47
	v_add_f32_e32 v47, v43, v77
	v_add_f32_e32 v47, v47, v51
	;; [unrolled: 1-line block ×3, first 2 shown]
	v_fmac_f32_e32 v43, -0.5, v51
	v_sub_f32_e32 v51, v50, v78
	v_mov_b32_e32 v50, v43
	v_add_f32_e32 v52, v81, v80
	v_fmac_f32_e32 v50, 0x3f5db3d7, v51
	v_fmac_f32_e32 v43, 0xbf5db3d7, v51
	v_add_f32_e32 v51, v44, v81
	v_fma_f32 v44, -0.5, v52, v44
	v_sub_f32_e32 v52, v79, v54
	v_mov_b32_e32 v53, v44
	v_fmac_f32_e32 v53, 0xbf5db3d7, v52
	v_fmac_f32_e32 v44, 0x3f5db3d7, v52
	v_add_f32_e32 v52, v45, v79
	v_add_f32_e32 v52, v52, v54
	;; [unrolled: 1-line block ×3, first 2 shown]
	v_fmac_f32_e32 v45, -0.5, v54
	v_sub_f32_e32 v55, v81, v80
	v_mov_b32_e32 v54, v45
	v_add_f32_e32 v46, v46, v78
	v_add_f32_e32 v51, v51, v80
	v_fmac_f32_e32 v54, 0x3f5db3d7, v55
	v_fmac_f32_e32 v45, 0xbf5db3d7, v55
	s_barrier
	ds_write2_b64 v102, v[0:1], v[40:41] offset1:8
	ds_write_b64 v102, v[2:3] offset:128
	ds_write2_b64 v103, v[46:47], v[49:50] offset1:8
	ds_write_b64 v103, v[42:43] offset:128
	;; [unrolled: 2-line block ×3, first 2 shown]
	s_waitcnt lgkmcnt(0)
	s_barrier
	ds_read2_b64 v[44:47], v37 offset0:48 offset1:136
	ds_read2_b64 v[40:43], v83 offset1:88
	ds_read2_b64 v[0:3], v36 offset0:16 offset1:104
	ds_read2_b64 v[49:52], v48 offset0:96 offset1:184
	ds_read_b64 v[53:54], v83 offset:5632
	s_waitcnt lgkmcnt(4)
	v_mul_f32_e32 v37, v13, v47
	v_mul_f32_e32 v13, v13, v46
	v_fmac_f32_e32 v37, v12, v46
	v_fma_f32 v12, v12, v47, -v13
	s_waitcnt lgkmcnt(2)
	v_mul_f32_e32 v13, v15, v1
	v_fmac_f32_e32 v13, v14, v0
	v_mul_f32_e32 v0, v15, v0
	v_fma_f32 v14, v14, v1, -v0
	s_waitcnt lgkmcnt(1)
	v_mul_f32_e32 v0, v9, v49
	v_mul_f32_e32 v15, v9, v50
	v_fma_f32 v46, v8, v50, -v0
	v_mul_f32_e32 v0, v11, v2
	v_fmac_f32_e32 v15, v8, v49
	v_mul_f32_e32 v47, v11, v3
	v_fma_f32 v49, v10, v3, -v0
	v_add_f32_e32 v3, v12, v14
	v_fmac_f32_e32 v47, v10, v2
	v_add_f32_e32 v1, v37, v13
	v_fma_f32 v9, -0.5, v3, v41
	v_mul_f32_e32 v50, v25, v52
	v_mul_f32_e32 v0, v25, v51
	v_fma_f32 v8, -0.5, v1, v40
	v_sub_f32_e32 v10, v37, v13
	v_mov_b32_e32 v3, v9
	v_add_f32_e32 v11, v15, v47
	v_fmac_f32_e32 v50, v24, v51
	v_fma_f32 v24, v24, v52, -v0
	s_waitcnt lgkmcnt(0)
	v_mul_f32_e32 v25, v27, v54
	v_mul_f32_e32 v0, v27, v53
	v_sub_f32_e32 v1, v12, v14
	v_mov_b32_e32 v2, v8
	v_fmac_f32_e32 v3, 0x3f5db3d7, v10
	v_fmac_f32_e32 v9, 0xbf5db3d7, v10
	v_add_f32_e32 v10, v42, v15
	v_fma_f32 v42, -0.5, v11, v42
	v_fmac_f32_e32 v25, v26, v53
	v_fma_f32 v26, v26, v54, -v0
	v_add_f32_e32 v0, v40, v37
	v_fmac_f32_e32 v2, 0xbf5db3d7, v1
	v_fmac_f32_e32 v8, 0x3f5db3d7, v1
	v_add_f32_e32 v1, v41, v12
	v_sub_f32_e32 v11, v46, v49
	v_mov_b32_e32 v40, v42
	v_add_f32_e32 v12, v46, v49
	v_fmac_f32_e32 v40, 0xbf5db3d7, v11
	v_fmac_f32_e32 v42, 0x3f5db3d7, v11
	v_add_f32_e32 v11, v43, v46
	v_fmac_f32_e32 v43, -0.5, v12
	v_add_f32_e32 v0, v0, v13
	v_sub_f32_e32 v12, v15, v47
	v_mov_b32_e32 v41, v43
	v_add_f32_e32 v13, v50, v25
	v_fmac_f32_e32 v41, 0x3f5db3d7, v12
	v_fmac_f32_e32 v43, 0xbf5db3d7, v12
	v_add_f32_e32 v12, v44, v50
	v_fma_f32 v44, -0.5, v13, v44
	v_add_f32_e32 v1, v1, v14
	v_sub_f32_e32 v13, v24, v26
	v_mov_b32_e32 v14, v44
	v_add_f32_e32 v15, v24, v26
	v_fmac_f32_e32 v14, 0xbf5db3d7, v13
	v_fmac_f32_e32 v44, 0x3f5db3d7, v13
	v_add_f32_e32 v13, v45, v24
	v_fmac_f32_e32 v45, -0.5, v15
	v_sub_f32_e32 v24, v50, v25
	v_mov_b32_e32 v15, v45
	v_add_f32_e32 v10, v10, v47
	v_add_f32_e32 v11, v11, v49
	;; [unrolled: 1-line block ×4, first 2 shown]
	v_fmac_f32_e32 v15, 0x3f5db3d7, v24
	v_fmac_f32_e32 v45, 0xbf5db3d7, v24
	s_barrier
	ds_write2_b64 v105, v[0:1], v[2:3] offset1:24
	ds_write_b64 v105, v[8:9] offset:384
	ds_write2_b64 v106, v[10:11], v[40:41] offset1:24
	ds_write_b64 v106, v[42:43] offset:384
	;; [unrolled: 2-line block ×3, first 2 shown]
	s_waitcnt lgkmcnt(0)
	s_barrier
	s_and_saveexec_b64 s[2:3], s[4:5]
	s_cbranch_execz .LBB0_35
; %bb.34:
	ds_read2_b64 v[0:3], v83 offset1:72
	ds_read2_b64 v[8:11], v83 offset0:144 offset1:216
	ds_read2_b64 v[40:43], v48 offset0:32 offset1:104
	;; [unrolled: 1-line block ×4, first 2 shown]
	ds_read_b64 v[56:57], v83 offset:5760
	s_waitcnt lgkmcnt(2)
	v_mov_b32_e32 v44, v36
	v_mov_b32_e32 v45, v37
.LBB0_35:
	s_or_b64 exec, exec, s[2:3]
	s_and_saveexec_b64 s[2:3], s[4:5]
	s_cbranch_execz .LBB0_37
; %bb.36:
	v_mul_f32_e32 v24, v29, v3
	s_waitcnt lgkmcnt(0)
	v_mul_f32_e32 v25, v35, v57
	v_mul_f32_e32 v35, v35, v56
	v_fmac_f32_e32 v24, v28, v2
	v_fmac_f32_e32 v25, v34, v56
	v_fma_f32 v34, v34, v57, -v35
	v_mul_f32_e32 v2, v29, v2
	v_mul_f32_e32 v35, v31, v9
	;; [unrolled: 1-line block ×3, first 2 shown]
	v_sub_f32_e32 v26, v24, v25
	v_fma_f32 v28, v28, v3, -v2
	v_fmac_f32_e32 v35, v30, v8
	v_fmac_f32_e32 v36, v32, v38
	v_mul_f32_e32 v3, v33, v38
	v_mul_f32_e32 v27, 0xbf7d64f0, v26
	v_sub_f32_e32 v37, v35, v36
	v_fma_f32 v32, v32, v39, -v3
	v_mul_f32_e32 v3, v31, v8
	v_add_f32_e32 v29, v34, v28
	v_mov_b32_e32 v2, v27
	v_mul_f32_e32 v46, 0x3e903f40, v37
	v_fma_f32 v30, v30, v9, -v3
	v_fmac_f32_e32 v2, 0xbe11bafb, v29
	v_add_f32_e32 v31, v32, v30
	v_mov_b32_e32 v3, v46
	v_add_f32_e32 v2, v1, v2
	v_fmac_f32_e32 v3, 0xbf75a155, v31
	v_mul_f32_e32 v33, v17, v11
	v_mul_f32_e32 v38, v23, v45
	v_add_f32_e32 v2, v3, v2
	v_fmac_f32_e32 v33, v16, v10
	v_fmac_f32_e32 v38, v22, v44
	v_mul_f32_e32 v3, v23, v44
	v_sub_f32_e32 v39, v33, v38
	v_fma_f32 v22, v22, v45, -v3
	v_mul_f32_e32 v3, v17, v10
	v_mul_f32_e32 v47, 0x3f68dda4, v39
	v_fma_f32 v16, v16, v11, -v3
	v_add_f32_e32 v17, v22, v16
	v_mov_b32_e32 v3, v47
	v_fmac_f32_e32 v3, 0x3ed4b147, v17
	v_mul_f32_e32 v23, v19, v41
	v_mul_f32_e32 v44, v21, v15
	v_add_f32_e32 v2, v3, v2
	v_fmac_f32_e32 v23, v18, v40
	v_fmac_f32_e32 v44, v20, v14
	v_mul_f32_e32 v3, v21, v14
	v_sub_f32_e32 v45, v23, v44
	v_fma_f32 v20, v20, v15, -v3
	v_mul_f32_e32 v3, v19, v40
	v_mul_f32_e32 v10, 0xbf0a6770, v45
	v_fma_f32 v18, v18, v41, -v3
	v_add_f32_e32 v14, v20, v18
	v_mov_b32_e32 v3, v10
	;; [unrolled: 14-line block ×3, first 2 shown]
	v_sub_f32_e32 v48, v28, v34
	s_mov_b32 s4, 0xbe11bafb
	v_fmac_f32_e32 v3, 0xbf27a4f4, v15
	v_add_f32_e32 v43, v25, v24
	v_mul_f32_e32 v12, 0xbf7d64f0, v48
	v_sub_f32_e32 v50, v30, v32
	s_mov_b32 s5, 0xbf75a155
	v_add_f32_e32 v3, v3, v2
	v_fma_f32 v2, v43, s4, -v12
	v_add_f32_e32 v49, v36, v35
	v_mul_f32_e32 v13, 0x3e903f40, v50
	v_sub_f32_e32 v52, v16, v22
	s_mov_b32 s12, 0x3ed4b147
	v_add_f32_e32 v2, v0, v2
	v_fma_f32 v4, v49, s5, -v13
	;; [unrolled: 6-line block ×4, first 2 shown]
	v_add_f32_e32 v57, v21, v19
	v_mul_f32_e32 v78, 0xbf4178ce, v77
	v_add_f32_e32 v2, v4, v2
	v_fma_f32 v4, v57, s14, -v78
	v_mul_f32_e32 v6, 0xbe903f40, v26
	v_add_f32_e32 v2, v4, v2
	v_mov_b32_e32 v4, v6
	v_mul_f32_e32 v7, 0x3f0a6770, v37
	v_fmac_f32_e32 v4, 0xbf75a155, v29
	v_mov_b32_e32 v5, v7
	v_add_f32_e32 v4, v1, v4
	v_fmac_f32_e32 v5, 0x3f575c64, v31
	v_mul_f32_e32 v8, 0xbf4178ce, v39
	v_add_f32_e32 v4, v5, v4
	v_mov_b32_e32 v5, v8
	v_fmac_f32_e32 v5, 0xbf27a4f4, v17
	v_mul_f32_e32 v9, 0x3f68dda4, v45
	v_add_f32_e32 v4, v5, v4
	v_mov_b32_e32 v5, v9
	v_fma_f32 v6, v29, s5, -v6
	v_fmac_f32_e32 v5, 0x3ed4b147, v14
	v_mul_f32_e32 v79, 0xbf7d64f0, v40
	v_add_f32_e32 v6, v1, v6
	v_fma_f32 v7, v31, s13, -v7
	v_add_f32_e32 v4, v5, v4
	v_mov_b32_e32 v5, v79
	v_add_f32_e32 v6, v7, v6
	v_fma_f32 v7, v17, s14, -v8
	v_fmac_f32_e32 v5, 0xbe11bafb, v15
	v_mul_f32_e32 v80, 0xbe903f40, v48
	v_add_f32_e32 v6, v7, v6
	v_fma_f32 v7, v14, s12, -v9
	v_add_f32_e32 v5, v5, v4
	v_fma_f32 v4, v43, s5, -v80
	;; [unrolled: 2-line block ×3, first 2 shown]
	v_fmac_f32_e32 v80, 0xbf75a155, v43
	v_mul_f32_e32 v79, 0xbf27a4f4, v29
	v_mul_f32_e32 v81, 0x3f0a6770, v50
	v_add_f32_e32 v7, v7, v6
	v_add_f32_e32 v6, v0, v80
	v_mov_b32_e32 v8, v79
	v_mul_f32_e32 v80, 0xbe11bafb, v31
	v_add_f32_e32 v4, v0, v4
	v_fma_f32 v82, v49, s13, -v81
	v_fmac_f32_e32 v81, 0x3f575c64, v49
	v_fmac_f32_e32 v8, 0x3f4178ce, v26
	v_mov_b32_e32 v9, v80
	v_add_f32_e32 v4, v82, v4
	v_mul_f32_e32 v82, 0xbf4178ce, v52
	v_add_f32_e32 v6, v81, v6
	v_add_f32_e32 v8, v1, v8
	v_fmac_f32_e32 v9, 0xbf7d64f0, v37
	v_mul_f32_e32 v81, 0x3f575c64, v17
	v_fma_f32 v86, v51, s14, -v82
	v_fmac_f32_e32 v82, 0xbf27a4f4, v51
	v_add_f32_e32 v8, v9, v8
	v_mov_b32_e32 v9, v81
	v_add_f32_e32 v4, v86, v4
	v_mul_f32_e32 v86, 0x3f68dda4, v55
	v_add_f32_e32 v6, v82, v6
	v_fmac_f32_e32 v9, 0x3f0a6770, v39
	v_mul_f32_e32 v82, 0xbf75a155, v14
	v_fma_f32 v87, v54, s12, -v86
	v_fmac_f32_e32 v86, 0x3ed4b147, v54
	v_add_f32_e32 v8, v9, v8
	v_mov_b32_e32 v9, v82
	v_add_f32_e32 v4, v87, v4
	v_mul_f32_e32 v87, 0xbf7d64f0, v77
	v_add_f32_e32 v6, v86, v6
	v_fmac_f32_e32 v9, 0x3e903f40, v45
	v_mul_f32_e32 v86, 0x3ed4b147, v15
	v_fma_f32 v88, v57, s4, -v87
	v_fmac_f32_e32 v87, 0xbe11bafb, v57
	v_add_f32_e32 v8, v9, v8
	v_mov_b32_e32 v9, v86
	v_fma_f32 v27, v29, s4, -v27
	v_add_f32_e32 v6, v87, v6
	v_fmac_f32_e32 v9, 0xbf68dda4, v40
	v_mul_f32_e32 v87, 0xbf4178ce, v48
	v_add_f32_e32 v27, v1, v27
	v_fma_f32 v46, v31, s5, -v46
	v_add_f32_e32 v4, v88, v4
	v_add_f32_e32 v9, v9, v8
	v_mov_b32_e32 v8, v87
	v_mul_f32_e32 v88, 0x3f7d64f0, v50
	v_add_f32_e32 v27, v46, v27
	v_fma_f32 v46, v17, s12, -v47
	v_fmac_f32_e32 v8, 0xbf27a4f4, v43
	v_mov_b32_e32 v89, v88
	v_add_f32_e32 v27, v46, v27
	v_fma_f32 v10, v14, s13, -v10
	v_add_f32_e32 v8, v0, v8
	v_fmac_f32_e32 v89, 0xbe11bafb, v49
	v_add_f32_e32 v10, v10, v27
	v_fma_f32 v11, v15, s14, -v11
	v_fmac_f32_e32 v12, 0xbe11bafb, v43
	v_mul_f32_e32 v27, 0x3ed4b147, v29
	v_add_f32_e32 v8, v89, v8
	v_mul_f32_e32 v89, 0xbf0a6770, v52
	v_add_f32_e32 v11, v11, v10
	v_add_f32_e32 v10, v0, v12
	v_fmac_f32_e32 v13, 0xbf75a155, v49
	v_mov_b32_e32 v12, v27
	v_mul_f32_e32 v46, 0xbf27a4f4, v31
	v_mov_b32_e32 v90, v89
	v_add_f32_e32 v10, v13, v10
	v_fmac_f32_e32 v12, 0x3f68dda4, v26
	v_mov_b32_e32 v13, v46
	v_fmac_f32_e32 v90, 0x3f575c64, v51
	v_add_f32_e32 v12, v1, v12
	v_fmac_f32_e32 v13, 0x3f4178ce, v37
	v_mul_f32_e32 v47, 0xbf75a155, v17
	v_add_f32_e32 v8, v90, v8
	v_mul_f32_e32 v90, 0xbe903f40, v55
	v_fmac_f32_e32 v53, 0x3ed4b147, v51
	v_add_f32_e32 v12, v13, v12
	v_mov_b32_e32 v13, v47
	v_mov_b32_e32 v91, v90
	v_add_f32_e32 v10, v53, v10
	v_fmac_f32_e32 v13, 0xbe903f40, v39
	v_mul_f32_e32 v53, 0xbe11bafb, v14
	v_fmac_f32_e32 v91, 0xbf75a155, v54
	v_fmac_f32_e32 v56, 0x3f575c64, v54
	v_add_f32_e32 v12, v13, v12
	v_mov_b32_e32 v13, v53
	v_add_f32_e32 v8, v91, v8
	v_mul_f32_e32 v91, 0x3f68dda4, v77
	v_add_f32_e32 v10, v56, v10
	v_fmac_f32_e32 v13, 0xbf7d64f0, v45
	v_mul_f32_e32 v56, 0x3f575c64, v15
	v_mov_b32_e32 v92, v91
	v_fmac_f32_e32 v78, 0xbf27a4f4, v57
	v_add_f32_e32 v12, v13, v12
	v_mov_b32_e32 v13, v56
	v_fmac_f32_e32 v92, 0x3ed4b147, v57
	v_add_f32_e32 v10, v78, v10
	v_fmac_f32_e32 v13, 0xbf0a6770, v40
	v_mul_f32_e32 v78, 0xbf68dda4, v48
	v_add_f32_e32 v8, v92, v8
	v_add_f32_e32 v13, v13, v12
	v_mov_b32_e32 v12, v78
	v_mul_f32_e32 v92, 0xbf4178ce, v50
	v_fmac_f32_e32 v12, 0x3ed4b147, v43
	v_mov_b32_e32 v93, v92
	v_add_f32_e32 v12, v0, v12
	v_fmac_f32_e32 v93, 0xbf27a4f4, v49
	v_add_f32_e32 v12, v93, v12
	v_mul_f32_e32 v93, 0x3e903f40, v52
	v_mov_b32_e32 v94, v93
	v_fmac_f32_e32 v94, 0xbf75a155, v51
	v_add_f32_e32 v12, v94, v12
	v_mul_f32_e32 v94, 0x3f7d64f0, v55
	v_mov_b32_e32 v95, v94
	;; [unrolled: 4-line block ×3, first 2 shown]
	v_fmac_f32_e32 v96, 0x3f575c64, v57
	v_mul_f32_e32 v29, 0x3f575c64, v29
	v_add_f32_e32 v12, v96, v12
	v_mov_b32_e32 v96, v29
	v_mul_f32_e32 v31, 0x3ed4b147, v31
	v_fmac_f32_e32 v96, 0x3f0a6770, v26
	v_mov_b32_e32 v97, v31
	v_add_f32_e32 v96, v1, v96
	v_fmac_f32_e32 v97, 0x3f68dda4, v37
	v_add_f32_e32 v96, v97, v96
	v_mul_f32_e32 v97, 0xbe11bafb, v17
	v_mov_b32_e32 v17, v97
	v_fmac_f32_e32 v17, 0x3f7d64f0, v39
	v_add_f32_e32 v17, v17, v96
	v_mul_f32_e32 v96, 0xbf27a4f4, v14
	v_mov_b32_e32 v14, v96
	v_mul_f32_e32 v98, 0xbf75a155, v15
	v_fmac_f32_e32 v14, 0x3f4178ce, v45
	v_mov_b32_e32 v15, v98
	v_add_f32_e32 v14, v14, v17
	v_fmac_f32_e32 v15, 0x3e903f40, v40
	v_mul_f32_e32 v48, 0xbf0a6770, v48
	v_add_f32_e32 v15, v15, v14
	v_mov_b32_e32 v14, v48
	v_mul_f32_e32 v50, 0xbf68dda4, v50
	v_fmac_f32_e32 v14, 0x3f575c64, v43
	v_mov_b32_e32 v17, v50
	v_add_f32_e32 v14, v0, v14
	v_fmac_f32_e32 v17, 0x3ed4b147, v49
	v_mul_f32_e32 v52, 0xbf7d64f0, v52
	v_add_f32_e32 v14, v17, v14
	v_mov_b32_e32 v17, v52
	v_fmac_f32_e32 v17, 0xbe11bafb, v51
	v_mul_f32_e32 v55, 0xbf4178ce, v55
	v_add_f32_e32 v14, v17, v14
	v_mov_b32_e32 v17, v55
	;; [unrolled: 4-line block ×3, first 2 shown]
	v_fmac_f32_e32 v17, 0xbf75a155, v57
	v_add_f32_e32 v14, v17, v14
	v_add_f32_e32 v17, v28, v1
	;; [unrolled: 1-line block ×10, first 2 shown]
	v_fmac_f32_e32 v79, 0xbf4178ce, v26
	v_add_f32_e32 v17, v34, v16
	v_add_f32_e32 v16, v0, v24
	;; [unrolled: 1-line block ×3, first 2 shown]
	v_fmac_f32_e32 v80, 0x3f7d64f0, v37
	v_add_f32_e32 v16, v35, v16
	v_add_f32_e32 v18, v80, v18
	v_fmac_f32_e32 v81, 0xbf0a6770, v39
	v_add_f32_e32 v16, v33, v16
	v_add_f32_e32 v18, v81, v18
	;; [unrolled: 3-line block ×4, first 2 shown]
	v_fma_f32 v18, v43, s14, -v87
	v_add_f32_e32 v18, v0, v18
	v_fma_f32 v20, v49, s4, -v88
	v_add_f32_e32 v18, v20, v18
	;; [unrolled: 2-line block ×4, first 2 shown]
	v_fma_f32 v20, v57, s12, -v91
	v_fmac_f32_e32 v27, 0xbf68dda4, v26
	v_add_f32_e32 v18, v20, v18
	v_add_f32_e32 v20, v1, v27
	v_fmac_f32_e32 v46, 0xbf4178ce, v37
	v_add_f32_e32 v20, v46, v20
	v_fmac_f32_e32 v47, 0x3e903f40, v39
	;; [unrolled: 2-line block ×4, first 2 shown]
	v_add_f32_e32 v16, v21, v16
	v_add_f32_e32 v21, v56, v20
	v_fma_f32 v20, v43, s12, -v78
	v_add_f32_e32 v20, v0, v20
	v_fma_f32 v22, v49, s14, -v92
	v_add_f32_e32 v16, v44, v16
	v_add_f32_e32 v20, v22, v20
	v_fma_f32 v22, v51, s5, -v93
	v_add_f32_e32 v16, v38, v16
	;; [unrolled: 3-line block ×4, first 2 shown]
	v_add_f32_e32 v20, v22, v20
	v_fmac_f32_e32 v29, 0xbf0a6770, v26
	v_fma_f32 v22, v43, s13, -v48
	v_add_f32_e32 v1, v1, v29
	v_fmac_f32_e32 v31, 0xbf68dda4, v37
	v_add_f32_e32 v0, v0, v22
	v_fma_f32 v22, v49, s12, -v50
	ds_write_b64 v83, v[16:17]
	v_lshl_add_u32 v16, v84, 3, v85
	v_add_f32_e32 v1, v31, v1
	v_fmac_f32_e32 v97, 0xbf7d64f0, v39
	v_add_f32_e32 v0, v22, v0
	v_fma_f32 v22, v51, s4, -v52
	ds_write2_b64 v16, v[14:15], v[12:13] offset0:72 offset1:144
	v_add_u32_e32 v12, 0x400, v16
	v_add_f32_e32 v1, v97, v1
	v_fmac_f32_e32 v96, 0xbf4178ce, v45
	v_add_f32_e32 v0, v22, v0
	v_fma_f32 v22, v54, s14, -v55
	ds_write2_b64 v12, v[10:11], v[8:9] offset0:88 offset1:160
	v_add_u32_e32 v8, 0x800, v16
	;; [unrolled: 6-line block ×3, first 2 shown]
	v_add_f32_e32 v1, v98, v1
	v_add_f32_e32 v0, v22, v0
	ds_write2_b64 v4, v[18:19], v[2:3] offset0:120 offset1:192
	v_add_u32_e32 v2, 0x1000, v16
	ds_write2_b64 v2, v[20:21], v[0:1] offset0:136 offset1:208
.LBB0_37:
	s_or_b64 exec, exec, s[2:3]
	s_waitcnt lgkmcnt(0)
	s_barrier
	ds_read2_b64 v[0:3], v83 offset1:88
	v_mad_u64_u32 v[8:9], s[2:3], s10, v66, 0
	s_mov_b32 s2, 0xa052bf5b
	s_mov_b32 s3, 0x3f54afd6
	s_waitcnt lgkmcnt(0)
	v_mul_f32_e32 v4, v76, v1
	v_fmac_f32_e32 v4, v75, v0
	v_cvt_f64_f32_e32 v[4:5], v4
	v_mul_f32_e32 v0, v76, v0
	v_fma_f32 v0, v75, v1, -v0
	v_cvt_f64_f32_e32 v[0:1], v0
	v_mul_f64 v[4:5], v[4:5], s[2:3]
	v_mad_u64_u32 v[10:11], s[4:5], s8, v84, 0
	v_mov_b32_e32 v6, v9
	v_mad_u64_u32 v[6:7], s[4:5], s11, v66, v[6:7]
	v_mul_f64 v[0:1], v[0:1], s[2:3]
	v_cvt_f32_f64_e32 v12, v[4:5]
	v_mov_b32_e32 v4, v11
	v_mad_u64_u32 v[14:15], s[4:5], s9, v84, v[4:5]
	v_add_u32_e32 v4, 0x800, v83
	v_mov_b32_e32 v9, v6
	ds_read2_b64 v[4:7], v4 offset0:140 offset1:228
	v_cvt_f32_f64_e32 v13, v[0:1]
	v_lshlrev_b64 v[0:1], 3, v[8:9]
	v_mov_b32_e32 v11, v14
	v_mov_b32_e32 v14, s7
	s_waitcnt lgkmcnt(0)
	v_mul_f32_e32 v8, v74, v5
	v_fmac_f32_e32 v8, v73, v4
	v_mul_f32_e32 v4, v74, v4
	v_fma_f32 v4, v73, v5, -v4
	v_cvt_f64_f32_e32 v[8:9], v8
	v_cvt_f64_f32_e32 v[4:5], v4
	v_add_co_u32_e32 v15, vcc, s6, v0
	v_addc_co_u32_e32 v14, vcc, v14, v1, vcc
	v_mul_f64 v[0:1], v[8:9], s[2:3]
	v_mul_f64 v[4:5], v[4:5], s[2:3]
	v_lshlrev_b64 v[8:9], 3, v[10:11]
	s_mul_i32 s4, s9, 0x18c
	s_mul_hi_u32 s5, s8, 0x18c
	v_add_co_u32_e32 v8, vcc, v15, v8
	s_add_i32 s5, s5, s4
	v_cvt_f32_f64_e32 v0, v[0:1]
	v_cvt_f32_f64_e32 v1, v[4:5]
	v_mul_f32_e32 v4, v72, v3
	v_fmac_f32_e32 v4, v71, v2
	v_mul_f32_e32 v2, v72, v2
	v_fma_f32 v2, v71, v3, -v2
	v_cvt_f64_f32_e32 v[4:5], v4
	v_cvt_f64_f32_e32 v[2:3], v2
	s_mul_i32 s4, s8, 0x18c
	v_addc_co_u32_e32 v9, vcc, v14, v9, vcc
	v_mul_f64 v[4:5], v[4:5], s[2:3]
	v_mul_f64 v[2:3], v[2:3], s[2:3]
	s_lshl_b64 s[4:5], s[4:5], 3
	global_store_dwordx2 v[8:9], v[12:13], off
	v_mov_b32_e32 v14, s5
	v_add_co_u32_e32 v8, vcc, s4, v8
	v_addc_co_u32_e32 v9, vcc, v9, v14, vcc
	global_store_dwordx2 v[8:9], v[0:1], off
	v_cvt_f32_f64_e32 v4, v[4:5]
	v_cvt_f32_f64_e32 v5, v[2:3]
	v_mul_f32_e32 v0, v70, v7
	v_mul_f32_e32 v2, v70, v6
	v_fmac_f32_e32 v0, v69, v6
	v_fma_f32 v2, v69, v7, -v2
	v_cvt_f64_f32_e32 v[0:1], v0
	v_cvt_f64_f32_e32 v[2:3], v2
	s_mul_hi_u32 s7, s8, 0xfffffecc
	s_mul_i32 s6, s9, 0xfffffecc
	v_mul_f64 v[6:7], v[0:1], s[2:3]
	v_mul_f64 v[10:11], v[2:3], s[2:3]
	v_add_u32_e32 v0, 0x400, v83
	s_sub_i32 s7, s7, s8
	ds_read2_b64 v[0:3], v0 offset0:48 offset1:136
	s_add_i32 s7, s7, s6
	s_mul_i32 s6, s8, 0xfffffecc
	s_lshl_b64 s[6:7], s[6:7], 3
	v_mov_b32_e32 v15, s7
	v_add_co_u32_e32 v8, vcc, s6, v8
	v_addc_co_u32_e32 v9, vcc, v9, v15, vcc
	global_store_dwordx2 v[8:9], v[4:5], off
	s_waitcnt lgkmcnt(0)
	v_mul_f32_e32 v4, v68, v1
	v_fmac_f32_e32 v4, v67, v0
	v_mul_f32_e32 v0, v68, v0
	v_cvt_f32_f64_e32 v13, v[10:11]
	v_cvt_f64_f32_e32 v[10:11], v4
	v_fma_f32 v0, v67, v1, -v0
	v_add_u32_e32 v4, 0x1000, v83
	v_cvt_f32_f64_e32 v12, v[6:7]
	v_cvt_f64_f32_e32 v[0:1], v0
	ds_read2_b64 v[4:7], v4 offset0:60 offset1:148
	v_add_co_u32_e32 v8, vcc, s4, v8
	v_addc_co_u32_e32 v9, vcc, v9, v14, vcc
	v_mul_f64 v[10:11], v[10:11], s[2:3]
	v_mul_f64 v[0:1], v[0:1], s[2:3]
	global_store_dwordx2 v[8:9], v[12:13], off
	s_waitcnt lgkmcnt(0)
	v_mul_f32_e32 v12, v65, v5
	v_fmac_f32_e32 v12, v64, v4
	v_mul_f32_e32 v4, v65, v4
	v_fma_f32 v4, v64, v5, -v4
	v_cvt_f64_f32_e32 v[12:13], v12
	v_cvt_f64_f32_e32 v[4:5], v4
	v_cvt_f32_f64_e32 v10, v[10:11]
	v_cvt_f32_f64_e32 v11, v[0:1]
	v_mul_f64 v[0:1], v[12:13], s[2:3]
	v_mul_f64 v[4:5], v[4:5], s[2:3]
	v_add_co_u32_e32 v8, vcc, s6, v8
	v_addc_co_u32_e32 v9, vcc, v9, v15, vcc
	global_store_dwordx2 v[8:9], v[10:11], off
	v_mul_f32_e32 v10, v61, v7
	v_cvt_f32_f64_e32 v0, v[0:1]
	v_cvt_f32_f64_e32 v1, v[4:5]
	v_mul_f32_e32 v4, v63, v3
	v_fmac_f32_e32 v4, v62, v2
	v_cvt_f64_f32_e32 v[4:5], v4
	v_mul_f32_e32 v2, v63, v2
	v_fma_f32 v2, v62, v3, -v2
	v_cvt_f64_f32_e32 v[2:3], v2
	v_mul_f64 v[4:5], v[4:5], s[2:3]
	v_fmac_f32_e32 v10, v60, v6
	v_mul_f32_e32 v6, v61, v6
	v_fma_f32 v6, v60, v7, -v6
	v_cvt_f64_f32_e32 v[10:11], v10
	v_cvt_f64_f32_e32 v[6:7], v6
	v_add_co_u32_e32 v8, vcc, s4, v8
	v_mul_f64 v[2:3], v[2:3], s[2:3]
	v_addc_co_u32_e32 v9, vcc, v9, v14, vcc
	global_store_dwordx2 v[8:9], v[0:1], off
	v_cvt_f32_f64_e32 v0, v[4:5]
	v_mul_f64 v[4:5], v[10:11], s[2:3]
	v_mul_f64 v[6:7], v[6:7], s[2:3]
	s_movk_i32 s8, 0x1000
	v_cvt_f32_f64_e32 v1, v[2:3]
	v_add_co_u32_e32 v2, vcc, s6, v8
	v_addc_co_u32_e32 v3, vcc, v9, v15, vcc
	v_cvt_f32_f64_e32 v4, v[4:5]
	v_cvt_f32_f64_e32 v5, v[6:7]
	global_store_dwordx2 v[2:3], v[0:1], off
	v_add_co_u32_e32 v0, vcc, s4, v2
	v_addc_co_u32_e32 v1, vcc, v3, v14, vcc
	global_store_dwordx2 v[0:1], v[4:5], off
	s_and_b64 exec, exec, s[0:1]
	s_cbranch_execz .LBB0_39
; %bb.38:
	global_load_dwordx2 v[2:3], v[58:59], off offset:2816
	v_add_co_u32_e32 v4, vcc, s8, v58
	v_addc_co_u32_e32 v5, vcc, 0, v59, vcc
	global_load_dwordx2 v[4:5], v[4:5], off offset:1888
	ds_read_b64 v[6:7], v83 offset:2816
	ds_read_b64 v[8:9], v83 offset:5984
	v_add_co_u32_e32 v0, vcc, s6, v0
	s_waitcnt vmcnt(1) lgkmcnt(1)
	v_mul_f32_e32 v10, v7, v3
	v_mul_f32_e32 v3, v6, v3
	v_fmac_f32_e32 v10, v6, v2
	v_fma_f32 v6, v2, v7, -v3
	v_cvt_f64_f32_e32 v[2:3], v10
	s_waitcnt vmcnt(0) lgkmcnt(0)
	v_mul_f32_e32 v7, v9, v5
	v_mul_f32_e32 v11, v8, v5
	v_cvt_f64_f32_e32 v[5:6], v6
	v_fmac_f32_e32 v7, v8, v4
	v_fma_f32 v8, v4, v9, -v11
	v_cvt_f64_f32_e32 v[8:9], v8
	v_mul_f64 v[4:5], v[5:6], s[2:3]
	v_cvt_f64_f32_e32 v[6:7], v7
	v_mul_f64 v[2:3], v[2:3], s[2:3]
	v_mul_f64 v[8:9], v[8:9], s[2:3]
	v_mov_b32_e32 v10, s7
	v_mul_f64 v[6:7], v[6:7], s[2:3]
	v_addc_co_u32_e32 v1, vcc, v1, v10, vcc
	v_mov_b32_e32 v11, s5
	v_cvt_f32_f64_e32 v2, v[2:3]
	v_cvt_f32_f64_e32 v3, v[4:5]
	v_cvt_f32_f64_e32 v5, v[8:9]
	v_cvt_f32_f64_e32 v4, v[6:7]
	global_store_dwordx2 v[0:1], v[2:3], off
	v_add_co_u32_e32 v0, vcc, s4, v0
	v_addc_co_u32_e32 v1, vcc, v1, v11, vcc
	global_store_dwordx2 v[0:1], v[4:5], off
.LBB0_39:
	s_endpgm
	.section	.rodata,"a",@progbits
	.p2align	6, 0x0
	.amdhsa_kernel bluestein_single_fwd_len792_dim1_sp_op_CI_CI
		.amdhsa_group_segment_fixed_size 12672
		.amdhsa_private_segment_fixed_size 0
		.amdhsa_kernarg_size 104
		.amdhsa_user_sgpr_count 6
		.amdhsa_user_sgpr_private_segment_buffer 1
		.amdhsa_user_sgpr_dispatch_ptr 0
		.amdhsa_user_sgpr_queue_ptr 0
		.amdhsa_user_sgpr_kernarg_segment_ptr 1
		.amdhsa_user_sgpr_dispatch_id 0
		.amdhsa_user_sgpr_flat_scratch_init 0
		.amdhsa_user_sgpr_private_segment_size 0
		.amdhsa_uses_dynamic_stack 0
		.amdhsa_system_sgpr_private_segment_wavefront_offset 0
		.amdhsa_system_sgpr_workgroup_id_x 1
		.amdhsa_system_sgpr_workgroup_id_y 0
		.amdhsa_system_sgpr_workgroup_id_z 0
		.amdhsa_system_sgpr_workgroup_info 0
		.amdhsa_system_vgpr_workitem_id 0
		.amdhsa_next_free_vgpr 205
		.amdhsa_next_free_sgpr 20
		.amdhsa_reserve_vcc 1
		.amdhsa_reserve_flat_scratch 0
		.amdhsa_float_round_mode_32 0
		.amdhsa_float_round_mode_16_64 0
		.amdhsa_float_denorm_mode_32 3
		.amdhsa_float_denorm_mode_16_64 3
		.amdhsa_dx10_clamp 1
		.amdhsa_ieee_mode 1
		.amdhsa_fp16_overflow 0
		.amdhsa_exception_fp_ieee_invalid_op 0
		.amdhsa_exception_fp_denorm_src 0
		.amdhsa_exception_fp_ieee_div_zero 0
		.amdhsa_exception_fp_ieee_overflow 0
		.amdhsa_exception_fp_ieee_underflow 0
		.amdhsa_exception_fp_ieee_inexact 0
		.amdhsa_exception_int_div_zero 0
	.end_amdhsa_kernel
	.text
.Lfunc_end0:
	.size	bluestein_single_fwd_len792_dim1_sp_op_CI_CI, .Lfunc_end0-bluestein_single_fwd_len792_dim1_sp_op_CI_CI
                                        ; -- End function
	.section	.AMDGPU.csdata,"",@progbits
; Kernel info:
; codeLenInByte = 11912
; NumSgprs: 24
; NumVgprs: 205
; ScratchSize: 0
; MemoryBound: 0
; FloatMode: 240
; IeeeMode: 1
; LDSByteSize: 12672 bytes/workgroup (compile time only)
; SGPRBlocks: 2
; VGPRBlocks: 51
; NumSGPRsForWavesPerEU: 24
; NumVGPRsForWavesPerEU: 205
; Occupancy: 1
; WaveLimiterHint : 1
; COMPUTE_PGM_RSRC2:SCRATCH_EN: 0
; COMPUTE_PGM_RSRC2:USER_SGPR: 6
; COMPUTE_PGM_RSRC2:TRAP_HANDLER: 0
; COMPUTE_PGM_RSRC2:TGID_X_EN: 1
; COMPUTE_PGM_RSRC2:TGID_Y_EN: 0
; COMPUTE_PGM_RSRC2:TGID_Z_EN: 0
; COMPUTE_PGM_RSRC2:TIDIG_COMP_CNT: 0
	.type	__hip_cuid_15bae35379f97eeb,@object ; @__hip_cuid_15bae35379f97eeb
	.section	.bss,"aw",@nobits
	.globl	__hip_cuid_15bae35379f97eeb
__hip_cuid_15bae35379f97eeb:
	.byte	0                               ; 0x0
	.size	__hip_cuid_15bae35379f97eeb, 1

	.ident	"AMD clang version 19.0.0git (https://github.com/RadeonOpenCompute/llvm-project roc-6.4.0 25133 c7fe45cf4b819c5991fe208aaa96edf142730f1d)"
	.section	".note.GNU-stack","",@progbits
	.addrsig
	.addrsig_sym __hip_cuid_15bae35379f97eeb
	.amdgpu_metadata
---
amdhsa.kernels:
  - .args:
      - .actual_access:  read_only
        .address_space:  global
        .offset:         0
        .size:           8
        .value_kind:     global_buffer
      - .actual_access:  read_only
        .address_space:  global
        .offset:         8
        .size:           8
        .value_kind:     global_buffer
      - .actual_access:  read_only
        .address_space:  global
        .offset:         16
        .size:           8
        .value_kind:     global_buffer
      - .actual_access:  read_only
        .address_space:  global
        .offset:         24
        .size:           8
        .value_kind:     global_buffer
      - .actual_access:  read_only
        .address_space:  global
        .offset:         32
        .size:           8
        .value_kind:     global_buffer
      - .offset:         40
        .size:           8
        .value_kind:     by_value
      - .address_space:  global
        .offset:         48
        .size:           8
        .value_kind:     global_buffer
      - .address_space:  global
        .offset:         56
        .size:           8
        .value_kind:     global_buffer
      - .address_space:  global
        .offset:         64
        .size:           8
        .value_kind:     global_buffer
      - .address_space:  global
        .offset:         72
        .size:           8
        .value_kind:     global_buffer
      - .offset:         80
        .size:           4
        .value_kind:     by_value
      - .address_space:  global
        .offset:         88
        .size:           8
        .value_kind:     global_buffer
      - .address_space:  global
        .offset:         96
        .size:           8
        .value_kind:     global_buffer
    .group_segment_fixed_size: 12672
    .kernarg_segment_align: 8
    .kernarg_segment_size: 104
    .language:       OpenCL C
    .language_version:
      - 2
      - 0
    .max_flat_workgroup_size: 176
    .name:           bluestein_single_fwd_len792_dim1_sp_op_CI_CI
    .private_segment_fixed_size: 0
    .sgpr_count:     24
    .sgpr_spill_count: 0
    .symbol:         bluestein_single_fwd_len792_dim1_sp_op_CI_CI.kd
    .uniform_work_group_size: 1
    .uses_dynamic_stack: false
    .vgpr_count:     205
    .vgpr_spill_count: 0
    .wavefront_size: 64
amdhsa.target:   amdgcn-amd-amdhsa--gfx906
amdhsa.version:
  - 1
  - 2
...

	.end_amdgpu_metadata
